;; amdgpu-corpus repo=ROCm/rocFFT kind=compiled arch=gfx906 opt=O3
	.text
	.amdgcn_target "amdgcn-amd-amdhsa--gfx906"
	.amdhsa_code_object_version 6
	.protected	fft_rtc_fwd_len858_factors_13_11_6_wgs_234_tpt_78_halfLds_dp_ip_CI_unitstride_sbrr_C2R_dirReg ; -- Begin function fft_rtc_fwd_len858_factors_13_11_6_wgs_234_tpt_78_halfLds_dp_ip_CI_unitstride_sbrr_C2R_dirReg
	.globl	fft_rtc_fwd_len858_factors_13_11_6_wgs_234_tpt_78_halfLds_dp_ip_CI_unitstride_sbrr_C2R_dirReg
	.p2align	8
	.type	fft_rtc_fwd_len858_factors_13_11_6_wgs_234_tpt_78_halfLds_dp_ip_CI_unitstride_sbrr_C2R_dirReg,@function
fft_rtc_fwd_len858_factors_13_11_6_wgs_234_tpt_78_halfLds_dp_ip_CI_unitstride_sbrr_C2R_dirReg: ; @fft_rtc_fwd_len858_factors_13_11_6_wgs_234_tpt_78_halfLds_dp_ip_CI_unitstride_sbrr_C2R_dirReg
; %bb.0:
	s_load_dwordx2 s[2:3], s[4:5], 0x50
	s_load_dwordx4 s[8:11], s[4:5], 0x0
	s_load_dwordx2 s[12:13], s[4:5], 0x18
	v_mul_u32_u24_e32 v1, 0x349, v0
	v_lshrrev_b32_e32 v1, 16, v1
	v_mad_u64_u32 v[1:2], s[0:1], s6, 3, v[1:2]
	v_mov_b32_e32 v5, 0
	s_waitcnt lgkmcnt(0)
	v_cmp_lt_u64_e64 s[0:1], s[10:11], 2
	v_mov_b32_e32 v2, v5
	v_mov_b32_e32 v3, 0
	;; [unrolled: 1-line block ×3, first 2 shown]
	s_and_b64 vcc, exec, s[0:1]
	v_mov_b32_e32 v4, 0
	v_mov_b32_e32 v9, v1
	s_cbranch_vccnz .LBB0_8
; %bb.1:
	s_load_dwordx2 s[0:1], s[4:5], 0x10
	s_add_u32 s6, s12, 8
	s_addc_u32 s7, s13, 0
	v_mov_b32_e32 v3, 0
	v_mov_b32_e32 v8, v2
	s_waitcnt lgkmcnt(0)
	s_add_u32 s16, s0, 8
	s_mov_b64 s[14:15], 1
	v_mov_b32_e32 v4, 0
	s_addc_u32 s17, s1, 0
	v_mov_b32_e32 v7, v1
.LBB0_2:                                ; =>This Inner Loop Header: Depth=1
	s_load_dwordx2 s[18:19], s[16:17], 0x0
                                        ; implicit-def: $vgpr9_vgpr10
	s_waitcnt lgkmcnt(0)
	v_or_b32_e32 v6, s19, v8
	v_cmp_ne_u64_e32 vcc, 0, v[5:6]
	s_and_saveexec_b64 s[0:1], vcc
	s_xor_b64 s[20:21], exec, s[0:1]
	s_cbranch_execz .LBB0_4
; %bb.3:                                ;   in Loop: Header=BB0_2 Depth=1
	v_cvt_f32_u32_e32 v2, s18
	v_cvt_f32_u32_e32 v6, s19
	s_sub_u32 s0, 0, s18
	s_subb_u32 s1, 0, s19
	v_mac_f32_e32 v2, 0x4f800000, v6
	v_rcp_f32_e32 v2, v2
	v_mul_f32_e32 v2, 0x5f7ffffc, v2
	v_mul_f32_e32 v6, 0x2f800000, v2
	v_trunc_f32_e32 v6, v6
	v_mac_f32_e32 v2, 0xcf800000, v6
	v_cvt_u32_f32_e32 v6, v6
	v_cvt_u32_f32_e32 v2, v2
	v_mul_lo_u32 v9, s0, v6
	v_mul_hi_u32 v10, s0, v2
	v_mul_lo_u32 v12, s1, v2
	v_mul_lo_u32 v11, s0, v2
	v_add_u32_e32 v9, v10, v9
	v_add_u32_e32 v9, v9, v12
	v_mul_hi_u32 v10, v2, v11
	v_mul_lo_u32 v12, v2, v9
	v_mul_hi_u32 v14, v2, v9
	v_mul_hi_u32 v13, v6, v11
	v_mul_lo_u32 v11, v6, v11
	v_mul_hi_u32 v15, v6, v9
	v_add_co_u32_e32 v10, vcc, v10, v12
	v_addc_co_u32_e32 v12, vcc, 0, v14, vcc
	v_mul_lo_u32 v9, v6, v9
	v_add_co_u32_e32 v10, vcc, v10, v11
	v_addc_co_u32_e32 v10, vcc, v12, v13, vcc
	v_addc_co_u32_e32 v11, vcc, 0, v15, vcc
	v_add_co_u32_e32 v9, vcc, v10, v9
	v_addc_co_u32_e32 v10, vcc, 0, v11, vcc
	v_add_co_u32_e32 v2, vcc, v2, v9
	v_addc_co_u32_e32 v6, vcc, v6, v10, vcc
	v_mul_lo_u32 v9, s0, v6
	v_mul_hi_u32 v10, s0, v2
	v_mul_lo_u32 v11, s1, v2
	v_mul_lo_u32 v12, s0, v2
	v_add_u32_e32 v9, v10, v9
	v_add_u32_e32 v9, v9, v11
	v_mul_lo_u32 v13, v2, v9
	v_mul_hi_u32 v14, v2, v12
	v_mul_hi_u32 v15, v2, v9
	;; [unrolled: 1-line block ×3, first 2 shown]
	v_mul_lo_u32 v12, v6, v12
	v_mul_hi_u32 v10, v6, v9
	v_add_co_u32_e32 v13, vcc, v14, v13
	v_addc_co_u32_e32 v14, vcc, 0, v15, vcc
	v_mul_lo_u32 v9, v6, v9
	v_add_co_u32_e32 v12, vcc, v13, v12
	v_addc_co_u32_e32 v11, vcc, v14, v11, vcc
	v_addc_co_u32_e32 v10, vcc, 0, v10, vcc
	v_add_co_u32_e32 v9, vcc, v11, v9
	v_addc_co_u32_e32 v10, vcc, 0, v10, vcc
	v_add_co_u32_e32 v2, vcc, v2, v9
	v_addc_co_u32_e32 v6, vcc, v6, v10, vcc
	v_mad_u64_u32 v[9:10], s[0:1], v7, v6, 0
	v_mul_hi_u32 v11, v7, v2
	v_add_co_u32_e32 v13, vcc, v11, v9
	v_addc_co_u32_e32 v14, vcc, 0, v10, vcc
	v_mad_u64_u32 v[9:10], s[0:1], v8, v2, 0
	v_mad_u64_u32 v[11:12], s[0:1], v8, v6, 0
	v_add_co_u32_e32 v2, vcc, v13, v9
	v_addc_co_u32_e32 v2, vcc, v14, v10, vcc
	v_addc_co_u32_e32 v6, vcc, 0, v12, vcc
	v_add_co_u32_e32 v2, vcc, v2, v11
	v_addc_co_u32_e32 v6, vcc, 0, v6, vcc
	v_mul_lo_u32 v11, s19, v2
	v_mul_lo_u32 v12, s18, v6
	v_mad_u64_u32 v[9:10], s[0:1], s18, v2, 0
	v_add3_u32 v10, v10, v12, v11
	v_sub_u32_e32 v11, v8, v10
	v_mov_b32_e32 v12, s19
	v_sub_co_u32_e32 v9, vcc, v7, v9
	v_subb_co_u32_e64 v11, s[0:1], v11, v12, vcc
	v_subrev_co_u32_e64 v12, s[0:1], s18, v9
	v_subbrev_co_u32_e64 v11, s[0:1], 0, v11, s[0:1]
	v_cmp_le_u32_e64 s[0:1], s19, v11
	v_cndmask_b32_e64 v13, 0, -1, s[0:1]
	v_cmp_le_u32_e64 s[0:1], s18, v12
	v_cndmask_b32_e64 v12, 0, -1, s[0:1]
	v_cmp_eq_u32_e64 s[0:1], s19, v11
	v_cndmask_b32_e64 v11, v13, v12, s[0:1]
	v_add_co_u32_e64 v12, s[0:1], 2, v2
	v_addc_co_u32_e64 v13, s[0:1], 0, v6, s[0:1]
	v_add_co_u32_e64 v14, s[0:1], 1, v2
	v_addc_co_u32_e64 v15, s[0:1], 0, v6, s[0:1]
	v_subb_co_u32_e32 v10, vcc, v8, v10, vcc
	v_cmp_ne_u32_e64 s[0:1], 0, v11
	v_cmp_le_u32_e32 vcc, s19, v10
	v_cndmask_b32_e64 v11, v15, v13, s[0:1]
	v_cndmask_b32_e64 v13, 0, -1, vcc
	v_cmp_le_u32_e32 vcc, s18, v9
	v_cndmask_b32_e64 v9, 0, -1, vcc
	v_cmp_eq_u32_e32 vcc, s19, v10
	v_cndmask_b32_e32 v9, v13, v9, vcc
	v_cmp_ne_u32_e32 vcc, 0, v9
	v_cndmask_b32_e32 v10, v6, v11, vcc
	v_cndmask_b32_e64 v6, v14, v12, s[0:1]
	v_cndmask_b32_e32 v9, v2, v6, vcc
.LBB0_4:                                ;   in Loop: Header=BB0_2 Depth=1
	s_andn2_saveexec_b64 s[0:1], s[20:21]
	s_cbranch_execz .LBB0_6
; %bb.5:                                ;   in Loop: Header=BB0_2 Depth=1
	v_cvt_f32_u32_e32 v2, s18
	s_sub_i32 s20, 0, s18
	v_rcp_iflag_f32_e32 v2, v2
	v_mul_f32_e32 v2, 0x4f7ffffe, v2
	v_cvt_u32_f32_e32 v2, v2
	v_mul_lo_u32 v6, s20, v2
	v_mul_hi_u32 v6, v2, v6
	v_add_u32_e32 v2, v2, v6
	v_mul_hi_u32 v2, v7, v2
	v_mul_lo_u32 v6, v2, s18
	v_add_u32_e32 v9, 1, v2
	v_sub_u32_e32 v6, v7, v6
	v_subrev_u32_e32 v10, s18, v6
	v_cmp_le_u32_e32 vcc, s18, v6
	v_cndmask_b32_e32 v6, v6, v10, vcc
	v_cndmask_b32_e32 v2, v2, v9, vcc
	v_add_u32_e32 v9, 1, v2
	v_cmp_le_u32_e32 vcc, s18, v6
	v_cndmask_b32_e32 v9, v2, v9, vcc
	v_mov_b32_e32 v10, v5
.LBB0_6:                                ;   in Loop: Header=BB0_2 Depth=1
	s_or_b64 exec, exec, s[0:1]
	v_mul_lo_u32 v2, v10, s18
	v_mul_lo_u32 v6, v9, s19
	v_mad_u64_u32 v[11:12], s[0:1], v9, s18, 0
	s_load_dwordx2 s[0:1], s[6:7], 0x0
	s_add_u32 s14, s14, 1
	v_add3_u32 v2, v12, v6, v2
	v_sub_co_u32_e32 v6, vcc, v7, v11
	v_subb_co_u32_e32 v2, vcc, v8, v2, vcc
	s_waitcnt lgkmcnt(0)
	v_mul_lo_u32 v2, s0, v2
	v_mul_lo_u32 v7, s1, v6
	v_mad_u64_u32 v[3:4], s[0:1], s0, v6, v[3:4]
	s_addc_u32 s15, s15, 0
	s_add_u32 s6, s6, 8
	v_add3_u32 v4, v7, v4, v2
	v_mov_b32_e32 v6, s10
	v_mov_b32_e32 v7, s11
	s_addc_u32 s7, s7, 0
	v_cmp_ge_u64_e32 vcc, s[14:15], v[6:7]
	s_add_u32 s16, s16, 8
	s_addc_u32 s17, s17, 0
	s_cbranch_vccnz .LBB0_8
; %bb.7:                                ;   in Loop: Header=BB0_2 Depth=1
	v_mov_b32_e32 v7, v9
	v_mov_b32_e32 v8, v10
	s_branch .LBB0_2
.LBB0_8:
	s_lshl_b64 s[0:1], s[10:11], 3
	s_add_u32 s0, s12, s0
	s_addc_u32 s1, s13, s1
	s_load_dwordx2 s[0:1], s[0:1], 0x0
	s_mov_b32 s6, 0xaaaaaaab
	v_mul_hi_u32 v5, v1, s6
	s_waitcnt lgkmcnt(0)
	v_mul_lo_u32 v6, s0, v10
	v_mul_lo_u32 v7, s1, v9
	v_mad_u64_u32 v[2:3], s[0:1], s0, v9, v[3:4]
	s_load_dwordx2 s[0:1], s[4:5], 0x20
	s_mov_b32 s4, 0x3483484
	v_lshrrev_b32_e32 v4, 1, v5
	v_mul_hi_u32 v5, v0, s4
	v_lshl_add_u32 v4, v4, 1, v4
	v_add3_u32 v3, v7, v3, v6
	v_sub_u32_e32 v1, v1, v4
	v_mul_u32_u24_e32 v1, 0x35b, v1
	s_waitcnt lgkmcnt(0)
	v_cmp_gt_u64_e64 s[0:1], s[0:1], v[9:10]
	v_mul_u32_u24_e32 v4, 0x4e, v5
	v_lshlrev_b64 v[70:71], 4, v[2:3]
	v_sub_u32_e32 v68, v0, v4
	v_lshlrev_b32_e32 v165, 4, v1
	s_and_saveexec_b64 s[4:5], s[0:1]
	s_cbranch_execz .LBB0_12
; %bb.9:
	v_mov_b32_e32 v69, 0
	v_mov_b32_e32 v0, s3
	v_add_co_u32_e32 v2, vcc, s2, v70
	v_lshlrev_b64 v[3:4], 4, v[68:69]
	v_addc_co_u32_e32 v0, vcc, v0, v71, vcc
	v_add_co_u32_e32 v43, vcc, v2, v3
	v_addc_co_u32_e32 v44, vcc, v0, v4, vcc
	s_movk_i32 s6, 0x1000
	v_add_co_u32_e32 v36, vcc, s6, v43
	v_addc_co_u32_e32 v37, vcc, 0, v44, vcc
	s_movk_i32 s6, 0x2000
	v_add_co_u32_e32 v45, vcc, s6, v43
	v_addc_co_u32_e32 v46, vcc, 0, v44, vcc
	global_load_dwordx4 v[4:7], v[43:44], off
	global_load_dwordx4 v[8:11], v[43:44], off offset:1248
	global_load_dwordx4 v[12:15], v[43:44], off offset:2496
	;; [unrolled: 1-line block ×7, first 2 shown]
	v_add_co_u32_e32 v47, vcc, 0x3000, v43
	global_load_dwordx4 v[36:39], v[45:46], off offset:1792
	global_load_dwordx4 v[40:43], v[45:46], off offset:3040
	v_addc_co_u32_e32 v48, vcc, 0, v44, vcc
	global_load_dwordx4 v[44:47], v[47:48], off offset:192
	v_lshlrev_b32_e32 v3, 4, v68
	s_movk_i32 s6, 0x4d
	v_add3_u32 v3, 0, v165, v3
	v_cmp_eq_u32_e32 vcc, s6, v68
	s_waitcnt vmcnt(10)
	ds_write_b128 v3, v[4:7]
	s_waitcnt vmcnt(9)
	ds_write_b128 v3, v[8:11] offset:1248
	s_waitcnt vmcnt(8)
	ds_write_b128 v3, v[12:15] offset:2496
	;; [unrolled: 2-line block ×10, first 2 shown]
	s_and_saveexec_b64 s[6:7], vcc
	s_cbranch_execz .LBB0_11
; %bb.10:
	v_add_co_u32_e32 v4, vcc, 0x3000, v2
	v_addc_co_u32_e32 v5, vcc, 0, v0, vcc
	global_load_dwordx4 v[4:7], v[4:5], off offset:1440
	v_mov_b32_e32 v68, 0x4d
	s_waitcnt vmcnt(0)
	ds_write_b128 v3, v[4:7] offset:12496
.LBB0_11:
	s_or_b64 exec, exec, s[6:7]
.LBB0_12:
	s_or_b64 exec, exec, s[4:5]
	v_lshl_add_u32 v164, v1, 4, 0
	v_lshlrev_b32_e32 v10, 4, v68
	v_add_u32_e32 v166, v164, v10
	s_waitcnt lgkmcnt(0)
	s_barrier
	v_sub_u32_e32 v11, v164, v10
	ds_read_b64 v[6:7], v166
	ds_read_b64 v[8:9], v11 offset:13728
	s_add_u32 s6, s8, 0x34d0
	s_addc_u32 s7, s9, 0
	v_cmp_ne_u32_e32 vcc, 0, v68
                                        ; implicit-def: $vgpr4_vgpr5
	s_waitcnt lgkmcnt(0)
	v_add_f64 v[0:1], v[6:7], v[8:9]
	v_add_f64 v[2:3], v[6:7], -v[8:9]
	s_and_saveexec_b64 s[4:5], vcc
	s_xor_b64 s[4:5], exec, s[4:5]
	s_cbranch_execz .LBB0_14
; %bb.13:
	v_mov_b32_e32 v69, 0
	v_lshlrev_b64 v[0:1], 4, v[68:69]
	v_mov_b32_e32 v2, s7
	v_add_co_u32_e32 v0, vcc, s6, v0
	v_addc_co_u32_e32 v1, vcc, v2, v1, vcc
	global_load_dwordx4 v[2:5], v[0:1], off
	ds_read_b64 v[0:1], v11 offset:13736
	ds_read_b64 v[12:13], v166 offset:8
	v_add_f64 v[14:15], v[6:7], v[8:9]
	v_add_f64 v[8:9], v[6:7], -v[8:9]
	s_waitcnt lgkmcnt(0)
	v_add_f64 v[16:17], v[0:1], v[12:13]
	v_add_f64 v[0:1], v[12:13], -v[0:1]
	s_waitcnt vmcnt(0)
	v_fma_f64 v[6:7], -v[8:9], v[4:5], v[14:15]
	v_fma_f64 v[12:13], v[16:17], v[4:5], -v[0:1]
	v_fma_f64 v[14:15], v[8:9], v[4:5], v[14:15]
	v_fma_f64 v[18:19], v[16:17], v[4:5], v[0:1]
	v_fma_f64 v[4:5], v[16:17], v[2:3], v[6:7]
	v_fma_f64 v[6:7], v[8:9], v[2:3], v[12:13]
	v_fma_f64 v[0:1], -v[16:17], v[2:3], v[14:15]
	v_fma_f64 v[2:3], v[8:9], v[2:3], v[18:19]
	ds_write_b128 v11, v[4:7] offset:13728
	v_mov_b32_e32 v4, v68
	v_mov_b32_e32 v5, v69
.LBB0_14:
	s_andn2_saveexec_b64 s[4:5], s[4:5]
	s_cbranch_execz .LBB0_16
; %bb.15:
	ds_read_b128 v[4:7], v164 offset:6864
	s_waitcnt lgkmcnt(0)
	v_add_f64 v[12:13], v[4:5], v[4:5]
	v_mul_f64 v[14:15], v[6:7], -2.0
	v_mov_b32_e32 v4, 0
	v_mov_b32_e32 v5, 0
	ds_write_b128 v164, v[12:15] offset:6864
.LBB0_16:
	s_or_b64 exec, exec, s[4:5]
	v_lshlrev_b64 v[4:5], 4, v[4:5]
	v_mov_b32_e32 v6, s7
	v_add_co_u32_e32 v24, vcc, s6, v4
	v_addc_co_u32_e32 v25, vcc, v6, v5, vcc
	global_load_dwordx4 v[4:7], v[24:25], off offset:1248
	global_load_dwordx4 v[12:15], v[24:25], off offset:2496
	ds_write_b128 v166, v[0:3]
	ds_read_b128 v[0:3], v166 offset:1248
	ds_read_b128 v[16:19], v11 offset:12480
	global_load_dwordx4 v[20:23], v[24:25], off offset:3744
	s_movk_i32 s4, 0x1000
	s_waitcnt lgkmcnt(0)
	v_add_f64 v[8:9], v[0:1], v[16:17]
	v_add_f64 v[26:27], v[18:19], v[2:3]
	v_add_f64 v[16:17], v[0:1], -v[16:17]
	v_add_f64 v[0:1], v[2:3], -v[18:19]
	s_waitcnt vmcnt(2)
	v_fma_f64 v[2:3], v[16:17], v[6:7], v[8:9]
	v_fma_f64 v[18:19], v[26:27], v[6:7], v[0:1]
	v_fma_f64 v[8:9], -v[16:17], v[6:7], v[8:9]
	v_fma_f64 v[28:29], v[26:27], v[6:7], -v[0:1]
	v_fma_f64 v[0:1], -v[26:27], v[4:5], v[2:3]
	v_fma_f64 v[2:3], v[16:17], v[4:5], v[18:19]
	v_fma_f64 v[6:7], v[26:27], v[4:5], v[8:9]
	;; [unrolled: 1-line block ×3, first 2 shown]
	ds_write_b128 v166, v[0:3] offset:1248
	ds_write_b128 v11, v[6:9] offset:12480
	v_add_co_u32_e32 v0, vcc, s4, v24
	v_addc_co_u32_e32 v1, vcc, 0, v25, vcc
	ds_read_b128 v[2:5], v166 offset:2496
	ds_read_b128 v[6:9], v11 offset:11232
	global_load_dwordx4 v[16:19], v[0:1], off offset:896
	v_cmp_gt_u32_e32 vcc, 39, v68
	s_waitcnt lgkmcnt(0)
	v_add_f64 v[24:25], v[2:3], v[6:7]
	v_add_f64 v[26:27], v[8:9], v[4:5]
	v_add_f64 v[28:29], v[2:3], -v[6:7]
	v_add_f64 v[2:3], v[4:5], -v[8:9]
	s_waitcnt vmcnt(2)
	v_fma_f64 v[4:5], v[28:29], v[14:15], v[24:25]
	v_fma_f64 v[6:7], v[26:27], v[14:15], v[2:3]
	v_fma_f64 v[8:9], -v[28:29], v[14:15], v[24:25]
	v_fma_f64 v[14:15], v[26:27], v[14:15], -v[2:3]
	v_fma_f64 v[2:3], -v[26:27], v[12:13], v[4:5]
	v_fma_f64 v[4:5], v[28:29], v[12:13], v[6:7]
	v_fma_f64 v[6:7], v[26:27], v[12:13], v[8:9]
	;; [unrolled: 1-line block ×3, first 2 shown]
	ds_write_b128 v166, v[2:5] offset:2496
	ds_write_b128 v11, v[6:9] offset:11232
	ds_read_b128 v[2:5], v166 offset:3744
	ds_read_b128 v[6:9], v11 offset:9984
	s_waitcnt lgkmcnt(0)
	v_add_f64 v[12:13], v[2:3], v[6:7]
	v_add_f64 v[14:15], v[8:9], v[4:5]
	v_add_f64 v[24:25], v[2:3], -v[6:7]
	v_add_f64 v[2:3], v[4:5], -v[8:9]
	s_waitcnt vmcnt(1)
	v_fma_f64 v[4:5], v[24:25], v[22:23], v[12:13]
	v_fma_f64 v[6:7], v[14:15], v[22:23], v[2:3]
	v_fma_f64 v[8:9], -v[24:25], v[22:23], v[12:13]
	v_fma_f64 v[12:13], v[14:15], v[22:23], -v[2:3]
	v_fma_f64 v[2:3], -v[14:15], v[20:21], v[4:5]
	v_fma_f64 v[4:5], v[24:25], v[20:21], v[6:7]
	v_fma_f64 v[6:7], v[14:15], v[20:21], v[8:9]
	;; [unrolled: 1-line block ×3, first 2 shown]
	ds_write_b128 v166, v[2:5] offset:3744
	ds_write_b128 v11, v[6:9] offset:9984
	ds_read_b128 v[2:5], v166 offset:4992
	ds_read_b128 v[6:9], v11 offset:8736
	s_waitcnt lgkmcnt(0)
	v_add_f64 v[12:13], v[2:3], v[6:7]
	v_add_f64 v[14:15], v[8:9], v[4:5]
	v_add_f64 v[20:21], v[2:3], -v[6:7]
	v_add_f64 v[2:3], v[4:5], -v[8:9]
	s_waitcnt vmcnt(0)
	v_fma_f64 v[4:5], v[20:21], v[18:19], v[12:13]
	v_fma_f64 v[6:7], v[14:15], v[18:19], v[2:3]
	v_fma_f64 v[8:9], -v[20:21], v[18:19], v[12:13]
	v_fma_f64 v[12:13], v[14:15], v[18:19], -v[2:3]
	v_fma_f64 v[2:3], -v[14:15], v[16:17], v[4:5]
	v_fma_f64 v[4:5], v[20:21], v[16:17], v[6:7]
	v_fma_f64 v[6:7], v[14:15], v[16:17], v[8:9]
	;; [unrolled: 1-line block ×3, first 2 shown]
	ds_write_b128 v166, v[2:5] offset:4992
	ds_write_b128 v11, v[6:9] offset:8736
	s_and_saveexec_b64 s[4:5], vcc
	s_cbranch_execz .LBB0_18
; %bb.17:
	global_load_dwordx4 v[0:3], v[0:1], off offset:2144
	ds_read_b128 v[4:7], v166 offset:6240
	ds_read_b128 v[12:15], v11 offset:7488
	s_waitcnt lgkmcnt(0)
	v_add_f64 v[8:9], v[4:5], v[12:13]
	v_add_f64 v[16:17], v[14:15], v[6:7]
	v_add_f64 v[12:13], v[4:5], -v[12:13]
	v_add_f64 v[4:5], v[6:7], -v[14:15]
	s_waitcnt vmcnt(0)
	v_fma_f64 v[6:7], v[12:13], v[2:3], v[8:9]
	v_fma_f64 v[14:15], v[16:17], v[2:3], v[4:5]
	v_fma_f64 v[8:9], -v[12:13], v[2:3], v[8:9]
	v_fma_f64 v[18:19], v[16:17], v[2:3], -v[4:5]
	v_fma_f64 v[2:3], -v[16:17], v[0:1], v[6:7]
	v_fma_f64 v[4:5], v[12:13], v[0:1], v[14:15]
	v_fma_f64 v[6:7], v[16:17], v[0:1], v[8:9]
	v_fma_f64 v[8:9], v[12:13], v[0:1], v[18:19]
	ds_write_b128 v166, v[2:5] offset:6240
	ds_write_b128 v11, v[6:9] offset:7488
.LBB0_18:
	s_or_b64 exec, exec, s[4:5]
	v_add3_u32 v69, 0, v10, v165
	s_waitcnt lgkmcnt(0)
	s_barrier
	s_barrier
	ds_read_b128 v[4:7], v69 offset:12672
	ds_read_b128 v[12:15], v69 offset:1056
	ds_read_b128 v[16:19], v166
	ds_read_b128 v[8:11], v69 offset:11616
	ds_read_b128 v[28:31], v69 offset:2112
	s_mov_b32 s4, 0x42a4c3d2
	s_waitcnt lgkmcnt(3)
	v_add_f64 v[76:77], v[14:15], -v[6:7]
	v_add_f64 v[74:75], v[12:13], -v[4:5]
	s_mov_b32 s5, 0xbfea55e2
	v_add_f64 v[72:73], v[12:13], v[4:5]
	s_waitcnt lgkmcnt(0)
	v_add_f64 v[82:83], v[30:31], -v[10:11]
	v_add_f64 v[112:113], v[14:15], v[6:7]
	v_add_f64 v[80:81], v[28:29], -v[8:9]
	ds_read_b128 v[24:27], v69 offset:3168
	ds_read_b128 v[20:23], v69 offset:10560
	v_mul_f64 v[114:115], v[76:77], s[4:5]
	v_mul_f64 v[130:131], v[74:75], s[4:5]
	s_mov_b32 s12, 0x1ea71119
	s_mov_b32 s10, 0x2ef20147
	;; [unrolled: 1-line block ×4, first 2 shown]
	v_add_f64 v[78:79], v[28:29], v[8:9]
	v_mul_f64 v[120:121], v[82:83], s[10:11]
	v_fma_f64 v[0:1], v[72:73], s[12:13], v[114:115]
	v_fma_f64 v[2:3], v[112:113], s[12:13], -v[130:131]
	v_add_f64 v[118:119], v[30:31], v[10:11]
	v_mul_f64 v[132:133], v[80:81], s[10:11]
	s_waitcnt lgkmcnt(0)
	v_add_f64 v[84:85], v[26:27], -v[22:23]
	v_add_f64 v[88:89], v[24:25], -v[20:21]
	s_mov_b32 s6, 0xb2365da1
	s_mov_b32 s14, 0x4bc48dbf
	;; [unrolled: 1-line block ×4, first 2 shown]
	v_add_f64 v[0:1], v[16:17], v[0:1]
	v_fma_f64 v[40:41], v[78:79], s[6:7], v[120:121]
	v_add_f64 v[2:3], v[18:19], v[2:3]
	v_fma_f64 v[42:43], v[118:119], s[6:7], -v[132:133]
	v_add_f64 v[86:87], v[24:25], v[20:21]
	v_mul_f64 v[96:97], v[84:85], s[14:15]
	v_add_f64 v[94:95], v[26:27], v[22:23]
	v_mul_f64 v[126:127], v[88:89], s[14:15]
	ds_read_b128 v[32:35], v69 offset:9504
	ds_read_b128 v[36:39], v69 offset:4224
	s_mov_b32 s16, 0x93053d00
	s_mov_b32 s17, 0xbfef11f4
	v_add_f64 v[0:1], v[40:41], v[0:1]
	v_add_f64 v[2:3], v[42:43], v[2:3]
	s_waitcnt lgkmcnt(0)
	v_add_f64 v[102:103], v[38:39], -v[34:35]
	v_add_f64 v[92:93], v[36:37], -v[32:33]
	ds_read_b128 v[44:47], v69 offset:5280
	ds_read_b128 v[40:43], v69 offset:8448
	v_fma_f64 v[48:49], v[86:87], s[16:17], v[96:97]
	v_fma_f64 v[50:51], v[94:95], s[16:17], -v[126:127]
	s_mov_b32 s22, 0x24c2f84
	s_mov_b32 s23, 0x3fe5384d
	v_add_f64 v[90:91], v[36:37], v[32:33]
	v_mul_f64 v[116:117], v[102:103], s[22:23]
	v_add_f64 v[110:111], v[38:39], v[34:35]
	v_mul_f64 v[140:141], v[92:93], s[22:23]
	s_waitcnt lgkmcnt(0)
	v_add_f64 v[104:105], v[46:47], -v[42:43]
	v_add_f64 v[100:101], v[44:45], -v[40:41]
	v_add_f64 v[0:1], v[48:49], v[0:1]
	v_add_f64 v[2:3], v[50:51], v[2:3]
	ds_read_b128 v[52:55], v69 offset:6336
	ds_read_b128 v[48:51], v69 offset:7392
	s_mov_b32 s20, 0xd0032e0c
	s_mov_b32 s26, 0x66966769
	;; [unrolled: 1-line block ×4, first 2 shown]
	v_fma_f64 v[56:57], v[90:91], s[20:21], v[116:117]
	v_fma_f64 v[58:59], v[110:111], s[20:21], -v[140:141]
	v_add_f64 v[98:99], v[44:45], v[40:41]
	v_mul_f64 v[122:123], v[104:105], s[26:27]
	v_add_f64 v[128:129], v[46:47], v[42:43]
	v_mul_f64 v[148:149], v[100:101], s[26:27]
	s_waitcnt lgkmcnt(0)
	v_add_f64 v[124:125], v[54:55], -v[50:51]
	v_add_f64 v[106:107], v[52:53], -v[48:49]
	s_mov_b32 s24, 0xebaa3ed8
	s_mov_b32 s40, 0x4267c47c
	;; [unrolled: 1-line block ×4, first 2 shown]
	v_add_f64 v[0:1], v[56:57], v[0:1]
	v_add_f64 v[2:3], v[58:59], v[2:3]
	v_fma_f64 v[56:57], v[98:99], s[24:25], v[122:123]
	v_fma_f64 v[58:59], v[128:129], s[24:25], -v[148:149]
	v_add_f64 v[108:109], v[52:53], v[48:49]
	v_mul_f64 v[136:137], v[124:125], s[40:41]
	v_add_f64 v[134:135], v[54:55], v[50:51]
	v_mul_f64 v[152:153], v[106:107], s[40:41]
	s_mov_b32 s28, 0xe00740e9
	s_mov_b32 s29, 0x3fec55a7
	v_add_f64 v[0:1], v[56:57], v[0:1]
	v_add_f64 v[2:3], v[58:59], v[2:3]
	s_movk_i32 s18, 0x42
	v_fma_f64 v[56:57], v[108:109], s[28:29], v[136:137]
	v_cmp_gt_u32_e32 vcc, s18, v68
	v_fma_f64 v[58:59], v[134:135], s[28:29], -v[152:153]
	s_barrier
	v_add_f64 v[0:1], v[56:57], v[0:1]
	v_add_f64 v[2:3], v[58:59], v[2:3]
	s_and_saveexec_b64 s[18:19], vcc
	s_cbranch_execz .LBB0_20
; %bb.19:
	v_mul_f64 v[56:57], v[112:113], s[16:17]
	s_mov_b32 s31, 0x3fcea1e5
	s_mov_b32 s30, s14
	v_mul_f64 v[60:61], v[118:119], s[28:29]
	v_mul_f64 v[169:170], v[76:77], s[14:15]
	s_mov_b32 s37, 0xbfddbe06
	s_mov_b32 s36, s40
	v_mul_f64 v[179:180], v[82:83], s[40:41]
	v_fma_f64 v[62:63], v[74:75], s[30:31], v[56:57]
	s_mov_b32 s39, 0xbfe5384d
	s_mov_b32 s38, s22
	v_fma_f64 v[171:172], v[80:81], s[36:37], v[60:61]
	v_fma_f64 v[181:182], v[72:73], s[16:17], v[169:170]
	v_mul_f64 v[167:168], v[94:95], s[20:21]
	v_fma_f64 v[56:57], v[74:75], s[14:15], v[56:57]
	v_fma_f64 v[187:188], v[78:79], s[28:29], v[179:180]
	v_add_f64 v[62:63], v[18:19], v[62:63]
	s_mov_b32 s45, 0x3fea55e2
	s_mov_b32 s44, s4
	v_mul_f64 v[66:67], v[110:111], s[12:13]
	v_add_f64 v[181:182], v[16:17], v[181:182]
	v_fma_f64 v[185:186], v[88:89], s[22:23], v[167:168]
	v_fma_f64 v[60:61], v[80:81], s[40:41], v[60:61]
	v_add_f64 v[56:57], v[18:19], v[56:57]
	v_add_f64 v[62:63], v[171:172], v[62:63]
	v_mul_f64 v[171:172], v[84:85], s[38:39]
	v_fma_f64 v[169:170], v[72:73], s[16:17], -v[169:170]
	v_mul_f64 v[189:190], v[102:103], s[44:45]
	v_add_f64 v[181:182], v[187:188], v[181:182]
	v_fma_f64 v[177:178], v[92:93], s[4:5], v[66:67]
	v_fma_f64 v[167:168], v[88:89], s[38:39], v[167:168]
	v_add_f64 v[56:57], v[60:61], v[56:57]
	v_add_f64 v[62:63], v[185:186], v[62:63]
	v_fma_f64 v[191:192], v[86:87], s[20:21], v[171:172]
	v_fma_f64 v[60:61], v[78:79], s[28:29], -v[179:180]
	v_add_f64 v[169:170], v[16:17], v[169:170]
	v_mul_f64 v[179:180], v[104:105], s[10:11]
	v_fma_f64 v[185:186], v[90:91], s[12:13], v[189:190]
	v_mul_f64 v[64:65], v[128:129], s[6:7]
	v_fma_f64 v[66:67], v[92:93], s[44:45], v[66:67]
	v_add_f64 v[62:63], v[177:178], v[62:63]
	v_add_f64 v[181:182], v[191:192], v[181:182]
	;; [unrolled: 1-line block ×3, first 2 shown]
	v_fma_f64 v[167:168], v[86:87], s[20:21], -v[171:172]
	v_add_f64 v[60:61], v[60:61], v[169:170]
	v_mul_f64 v[169:170], v[124:125], s[26:27]
	v_fma_f64 v[171:172], v[98:99], s[6:7], v[179:180]
	s_mov_b32 s43, 0x3fedeba7
	s_mov_b32 s42, s10
	v_add_f64 v[177:178], v[185:186], v[181:182]
	v_mul_f64 v[58:59], v[134:135], s[24:25]
	v_fma_f64 v[173:174], v[100:101], s[42:43], v[64:65]
	v_fma_f64 v[64:65], v[100:101], s[10:11], v[64:65]
	v_add_f64 v[56:57], v[66:67], v[56:57]
	v_fma_f64 v[66:67], v[90:91], s[12:13], -v[189:190]
	v_add_f64 v[60:61], v[167:168], v[60:61]
	v_fma_f64 v[167:168], v[108:109], s[24:25], v[169:170]
	v_add_f64 v[171:172], v[171:172], v[177:178]
	s_mov_b32 s35, 0xbfefc445
	s_mov_b32 s34, s26
	v_fma_f64 v[181:182], v[106:107], s[34:35], v[58:59]
	v_add_f64 v[62:63], v[173:174], v[62:63]
	v_mul_f64 v[177:178], v[112:113], s[20:21]
	v_add_f64 v[64:65], v[64:65], v[56:57]
	v_fma_f64 v[179:180], v[98:99], s[6:7], -v[179:180]
	v_add_f64 v[60:61], v[66:67], v[60:61]
	v_add_f64 v[56:57], v[167:168], v[171:172]
	v_mul_f64 v[167:168], v[76:77], s[38:39]
	v_fma_f64 v[173:174], v[106:107], s[26:27], v[58:59]
	v_add_f64 v[58:59], v[181:182], v[62:63]
	v_mul_f64 v[66:67], v[118:119], s[24:25]
	v_fma_f64 v[171:172], v[74:75], s[22:23], v[177:178]
	v_mul_f64 v[193:194], v[84:85], s[4:5]
	v_add_f64 v[60:61], v[179:180], v[60:61]
	v_mul_f64 v[179:180], v[82:83], s[26:27]
	v_fma_f64 v[181:182], v[72:73], s[20:21], v[167:168]
	v_add_f64 v[62:63], v[173:174], v[64:65]
	v_fma_f64 v[64:65], v[108:109], s[24:25], -v[169:170]
	v_mul_f64 v[169:170], v[94:95], s[12:13]
	v_fma_f64 v[173:174], v[80:81], s[34:35], v[66:67]
	v_add_f64 v[171:172], v[18:19], v[171:172]
	v_mul_f64 v[189:190], v[110:111], s[16:17]
	v_fma_f64 v[195:196], v[78:79], s[24:25], v[179:180]
	v_add_f64 v[181:182], v[16:17], v[181:182]
	v_mul_f64 v[197:198], v[102:103], s[30:31]
	v_fma_f64 v[177:178], v[74:75], s[38:39], v[177:178]
	v_fma_f64 v[191:192], v[88:89], s[44:45], v[169:170]
	v_fma_f64 v[201:202], v[86:87], s[12:13], v[193:194]
	v_add_f64 v[171:172], v[173:174], v[171:172]
	v_fma_f64 v[167:168], v[72:73], s[20:21], -v[167:168]
	v_mul_f64 v[185:186], v[128:129], s[28:29]
	v_add_f64 v[181:182], v[195:196], v[181:182]
	v_fma_f64 v[199:200], v[92:93], s[14:15], v[189:190]
	v_fma_f64 v[195:196], v[90:91], s[16:17], v[197:198]
	;; [unrolled: 1-line block ×3, first 2 shown]
	v_add_f64 v[177:178], v[18:19], v[177:178]
	v_add_f64 v[171:172], v[191:192], v[171:172]
	v_mul_f64 v[191:192], v[104:105], s[40:41]
	v_fma_f64 v[179:180], v[78:79], s[24:25], -v[179:180]
	v_add_f64 v[167:168], v[16:17], v[167:168]
	v_add_f64 v[181:182], v[201:202], v[181:182]
	v_mul_f64 v[187:188], v[134:135], s[6:7]
	v_fma_f64 v[173:174], v[100:101], s[36:37], v[185:186]
	v_add_f64 v[66:67], v[66:67], v[177:178]
	v_add_f64 v[171:172], v[199:200], v[171:172]
	v_mul_f64 v[199:200], v[124:125], s[10:11]
	v_fma_f64 v[201:202], v[98:99], s[28:29], v[191:192]
	v_fma_f64 v[177:178], v[86:87], s[12:13], -v[193:194]
	v_add_f64 v[167:168], v[179:180], v[167:168]
	v_add_f64 v[179:180], v[195:196], v[181:182]
	v_fma_f64 v[169:170], v[88:89], s[4:5], v[169:170]
	v_fma_f64 v[181:182], v[106:107], s[42:43], v[187:188]
	v_add_f64 v[171:172], v[173:174], v[171:172]
	v_fma_f64 v[173:174], v[108:109], s[6:7], v[199:200]
	v_fma_f64 v[193:194], v[90:91], s[16:17], -v[197:198]
	v_fma_f64 v[189:190], v[92:93], s[30:31], v[189:190]
	v_add_f64 v[167:168], v[177:178], v[167:168]
	v_add_f64 v[177:178], v[201:202], v[179:180]
	;; [unrolled: 1-line block ×5, first 2 shown]
	v_mul_f64 v[179:180], v[112:113], s[6:7]
	v_fma_f64 v[181:182], v[98:99], s[28:29], -v[191:192]
	v_fma_f64 v[171:172], v[100:101], s[40:41], v[185:186]
	v_add_f64 v[167:168], v[193:194], v[167:168]
	v_add_f64 v[64:65], v[173:174], v[177:178]
	v_mul_f64 v[173:174], v[76:77], s[10:11]
	v_add_f64 v[169:170], v[189:190], v[169:170]
	v_fma_f64 v[177:178], v[106:107], s[10:11], v[187:188]
	v_mul_f64 v[185:186], v[118:119], s[20:21]
	v_fma_f64 v[187:188], v[74:75], s[42:43], v[179:180]
	v_mul_f64 v[191:192], v[94:95], s[28:29]
	v_add_f64 v[167:168], v[181:182], v[167:168]
	v_mul_f64 v[181:182], v[82:83], s[22:23]
	v_fma_f64 v[189:190], v[72:73], s[6:7], v[173:174]
	v_add_f64 v[169:170], v[171:172], v[169:170]
	v_fma_f64 v[171:172], v[108:109], s[6:7], -v[199:200]
	v_fma_f64 v[193:194], v[80:81], s[38:39], v[185:186]
	v_add_f64 v[187:188], v[18:19], v[187:188]
	v_mul_f64 v[199:200], v[84:85], s[40:41]
	v_fma_f64 v[179:180], v[74:75], s[10:11], v[179:180]
	v_fma_f64 v[201:202], v[78:79], s[20:21], v[181:182]
	v_add_f64 v[189:190], v[16:17], v[189:190]
	v_mul_f64 v[203:204], v[110:111], s[24:25]
	v_fma_f64 v[205:206], v[88:89], s[36:37], v[191:192]
	v_mul_f64 v[207:208], v[102:103], s[34:35]
	v_add_f64 v[187:188], v[193:194], v[187:188]
	v_fma_f64 v[209:210], v[86:87], s[28:29], v[199:200]
	v_fma_f64 v[185:186], v[80:81], s[22:23], v[185:186]
	v_add_f64 v[179:180], v[18:19], v[179:180]
	v_add_f64 v[189:190], v[201:202], v[189:190]
	v_fma_f64 v[201:202], v[92:93], s[26:27], v[203:204]
	v_fma_f64 v[191:192], v[88:89], s[40:41], v[191:192]
	;; [unrolled: 1-line block ×3, first 2 shown]
	v_add_f64 v[187:188], v[205:206], v[187:188]
	v_mul_f64 v[205:206], v[104:105], s[30:31]
	v_fma_f64 v[173:174], v[72:73], s[6:7], -v[173:174]
	v_add_f64 v[179:180], v[185:186], v[179:180]
	v_add_f64 v[189:190], v[209:210], v[189:190]
	v_add_f64 v[14:15], v[18:19], v[14:15]
	v_add_f64 v[12:13], v[16:17], v[12:13]
	v_mul_f64 v[195:196], v[128:129], s[16:17]
	v_add_f64 v[187:188], v[201:202], v[187:188]
	v_mul_f64 v[185:186], v[124:125], s[44:45]
	v_fma_f64 v[201:202], v[98:99], s[16:17], v[205:206]
	v_fma_f64 v[203:204], v[92:93], s[34:35], v[203:204]
	v_add_f64 v[189:190], v[211:212], v[189:190]
	v_add_f64 v[179:180], v[191:192], v[179:180]
	v_fma_f64 v[181:182], v[78:79], s[20:21], -v[181:182]
	v_add_f64 v[173:174], v[16:17], v[173:174]
	v_add_f64 v[14:15], v[14:15], v[30:31]
	;; [unrolled: 1-line block ×3, first 2 shown]
	v_mul_f64 v[197:198], v[134:135], s[12:13]
	v_fma_f64 v[191:192], v[108:109], s[12:13], v[185:186]
	v_add_f64 v[189:190], v[201:202], v[189:190]
	v_add_f64 v[169:170], v[177:178], v[169:170]
	v_fma_f64 v[177:178], v[100:101], s[30:31], v[195:196]
	v_add_f64 v[179:180], v[203:204], v[179:180]
	v_fma_f64 v[193:194], v[100:101], s[14:15], v[195:196]
	v_fma_f64 v[199:200], v[86:87], s[28:29], -v[199:200]
	v_add_f64 v[173:174], v[181:182], v[173:174]
	v_add_f64 v[14:15], v[14:15], v[26:27]
	;; [unrolled: 1-line block ×3, first 2 shown]
	v_mul_f64 v[175:176], v[112:113], s[12:13]
	v_add_f64 v[167:168], v[171:172], v[167:168]
	v_add_f64 v[171:172], v[191:192], v[189:190]
	v_fma_f64 v[191:192], v[106:107], s[44:45], v[197:198]
	v_add_f64 v[177:178], v[177:178], v[179:180]
	v_fma_f64 v[181:182], v[106:107], s[4:5], v[197:198]
	v_add_f64 v[187:188], v[193:194], v[187:188]
	v_fma_f64 v[193:194], v[90:91], s[24:25], -v[207:208]
	v_add_f64 v[199:200], v[199:200], v[173:174]
	v_add_f64 v[14:15], v[14:15], v[38:39]
	v_add_f64 v[36:37], v[12:13], v[36:37]
	v_mul_f64 v[160:161], v[72:73], s[12:13]
	v_mul_f64 v[162:163], v[118:119], s[6:7]
	v_add_f64 v[177:178], v[191:192], v[177:178]
	v_add_f64 v[191:192], v[130:131], v[175:176]
	;; [unrolled: 1-line block ×3, first 2 shown]
	v_fma_f64 v[181:182], v[98:99], s[16:17], -v[205:206]
	v_add_f64 v[187:188], v[193:194], v[199:200]
	v_mul_f64 v[189:190], v[112:113], s[24:25]
	v_add_f64 v[14:15], v[14:15], v[46:47]
	v_add_f64 v[36:37], v[36:37], v[44:45]
	v_mul_f64 v[150:151], v[78:79], s[6:7]
	v_mul_f64 v[156:157], v[94:95], s[16:17]
	v_add_f64 v[132:133], v[132:133], v[162:163]
	v_add_f64 v[162:163], v[18:19], v[191:192]
	v_add_f64 v[114:115], v[160:161], -v[114:115]
	v_mul_f64 v[112:113], v[112:113], s[28:29]
	v_mul_f64 v[44:45], v[76:77], s[36:37]
	;; [unrolled: 1-line block ×4, first 2 shown]
	v_add_f64 v[181:182], v[181:182], v[187:188]
	v_fma_f64 v[187:188], v[74:75], s[26:27], v[189:190]
	v_fma_f64 v[189:190], v[74:75], s[34:35], v[189:190]
	v_add_f64 v[14:15], v[14:15], v[54:55]
	v_add_f64 v[36:37], v[36:37], v[52:53]
	v_mul_f64 v[146:147], v[86:87], s[16:17]
	v_mul_f64 v[154:155], v[110:111], s[20:21]
	;; [unrolled: 1-line block ×3, first 2 shown]
	v_add_f64 v[126:127], v[126:127], v[156:157]
	v_add_f64 v[132:133], v[132:133], v[162:163]
	v_add_f64 v[120:121], v[150:151], -v[120:121]
	v_add_f64 v[114:115], v[16:17], v[114:115]
	v_mul_f64 v[118:119], v[118:119], s[12:13]
	v_fma_f64 v[150:151], v[74:75], s[40:41], v[112:113]
	v_fma_f64 v[74:75], v[74:75], s[36:37], v[112:113]
	v_mul_f64 v[82:83], v[82:83], s[4:5]
	v_fma_f64 v[52:53], v[72:73], s[28:29], -v[44:45]
	v_mul_f64 v[199:200], v[94:95], s[6:7]
	v_fma_f64 v[205:206], v[72:73], s[24:25], v[193:194]
	v_fma_f64 v[207:208], v[80:81], s[30:31], v[195:196]
	v_add_f64 v[187:188], v[18:19], v[187:188]
	v_fma_f64 v[195:196], v[80:81], s[14:15], v[195:196]
	v_add_f64 v[189:190], v[18:19], v[189:190]
	v_fma_f64 v[193:194], v[72:73], s[24:25], -v[193:194]
	v_fma_f64 v[44:45], v[72:73], s[28:29], v[44:45]
	v_add_f64 v[14:15], v[14:15], v[50:51]
	v_add_f64 v[36:37], v[36:37], v[48:49]
	v_mul_f64 v[144:145], v[90:91], s[20:21]
	v_mul_f64 v[158:159], v[128:129], s[24:25]
	v_add_f64 v[140:141], v[140:141], v[154:155]
	v_add_f64 v[126:127], v[126:127], v[132:133]
	v_add_f64 v[96:97], v[146:147], -v[96:97]
	v_add_f64 v[114:115], v[120:121], v[114:115]
	v_mul_f64 v[94:95], v[94:95], s[24:25]
	v_add_f64 v[132:133], v[18:19], v[150:151]
	v_mul_f64 v[54:55], v[84:85], s[34:35]
	v_fma_f64 v[72:73], v[80:81], s[4:5], v[118:119]
	v_add_f64 v[18:19], v[18:19], v[74:75]
	v_fma_f64 v[74:75], v[78:79], s[12:13], -v[82:83]
	v_add_f64 v[48:49], v[16:17], v[52:53]
	v_mul_f64 v[209:210], v[110:111], s[28:29]
	v_fma_f64 v[211:212], v[88:89], s[10:11], v[199:200]
	v_mul_f64 v[213:214], v[84:85], s[42:43]
	v_fma_f64 v[215:216], v[78:79], s[16:17], v[203:204]
	v_add_f64 v[205:206], v[16:17], v[205:206]
	v_add_f64 v[187:188], v[207:208], v[187:188]
	v_fma_f64 v[199:200], v[88:89], s[42:43], v[199:200]
	v_add_f64 v[189:190], v[195:196], v[189:190]
	v_fma_f64 v[203:204], v[78:79], s[16:17], -v[203:204]
	v_add_f64 v[193:194], v[16:17], v[193:194]
	v_fma_f64 v[120:121], v[80:81], s[44:45], v[118:119]
	v_fma_f64 v[50:51], v[78:79], s[12:13], v[82:83]
	v_add_f64 v[16:17], v[16:17], v[44:45]
	v_add_f64 v[14:15], v[14:15], v[42:43]
	;; [unrolled: 1-line block ×3, first 2 shown]
	v_mul_f64 v[142:143], v[98:99], s[24:25]
	v_mul_f64 v[217:218], v[102:103], s[40:41]
	v_add_f64 v[148:149], v[148:149], v[158:159]
	v_add_f64 v[28:29], v[140:141], v[126:127]
	v_add_f64 v[30:31], v[144:145], -v[116:117]
	v_add_f64 v[96:97], v[96:97], v[114:115]
	v_mul_f64 v[110:111], v[110:111], s[6:7]
	v_mul_f64 v[102:103], v[102:103], s[10:11]
	v_fma_f64 v[44:45], v[88:89], s[34:35], v[94:95]
	v_add_f64 v[18:19], v[72:73], v[18:19]
	v_fma_f64 v[52:53], v[86:87], s[24:25], -v[54:55]
	v_add_f64 v[40:41], v[74:75], v[48:49]
	v_mul_f64 v[179:180], v[128:129], s[12:13]
	v_fma_f64 v[207:208], v[92:93], s[36:37], v[209:210]
	v_fma_f64 v[219:220], v[86:87], s[6:7], v[213:214]
	v_add_f64 v[205:206], v[215:216], v[205:206]
	v_add_f64 v[187:188], v[211:212], v[187:188]
	v_fma_f64 v[209:210], v[92:93], s[40:41], v[209:210]
	v_add_f64 v[189:190], v[199:200], v[189:190]
	v_fma_f64 v[213:214], v[86:87], s[6:7], -v[213:214]
	v_add_f64 v[193:194], v[203:204], v[193:194]
	v_fma_f64 v[114:115], v[88:89], s[26:27], v[94:95]
	v_add_f64 v[116:117], v[120:121], v[132:133]
	v_fma_f64 v[42:43], v[86:87], s[24:25], v[54:55]
	v_add_f64 v[16:17], v[50:51], v[16:17]
	v_add_f64 v[14:15], v[14:15], v[34:35]
	v_add_f64 v[32:33], v[36:37], v[32:33]
	v_add_f64 v[24:25], v[148:149], v[28:29]
	v_add_f64 v[26:27], v[142:143], -v[122:123]
	v_add_f64 v[28:29], v[30:31], v[96:97]
	v_mul_f64 v[30:31], v[128:129], s[20:21]
	v_mul_f64 v[76:77], v[104:105], s[38:39]
	v_fma_f64 v[48:49], v[92:93], s[10:11], v[110:111]
	v_add_f64 v[18:19], v[44:45], v[18:19]
	v_fma_f64 v[44:45], v[90:91], s[6:7], -v[102:103]
	v_add_f64 v[34:35], v[52:53], v[40:41]
	v_mul_f64 v[183:184], v[134:135], s[28:29]
	v_fma_f64 v[185:186], v[108:109], s[12:13], -v[185:186]
	v_mul_f64 v[197:198], v[134:135], s[20:21]
	v_fma_f64 v[201:202], v[100:101], s[44:45], v[179:180]
	v_mul_f64 v[195:196], v[104:105], s[4:5]
	v_fma_f64 v[211:212], v[90:91], s[28:29], v[217:218]
	v_add_f64 v[205:206], v[219:220], v[205:206]
	v_add_f64 v[187:188], v[207:208], v[187:188]
	;; [unrolled: 1-line block ×3, first 2 shown]
	v_fma_f64 v[209:210], v[90:91], s[28:29], -v[217:218]
	v_add_f64 v[193:194], v[213:214], v[193:194]
	v_fma_f64 v[96:97], v[92:93], s[42:43], v[110:111]
	v_add_f64 v[114:115], v[114:115], v[116:117]
	v_fma_f64 v[36:37], v[90:91], s[6:7], v[102:103]
	v_add_f64 v[16:17], v[42:43], v[16:17]
	v_add_f64 v[14:15], v[14:15], v[22:23]
	;; [unrolled: 1-line block ×4, first 2 shown]
	v_mul_f64 v[28:29], v[134:135], s[16:17]
	v_fma_f64 v[38:39], v[100:101], s[22:23], v[30:31]
	v_mul_f64 v[46:47], v[124:125], s[14:15]
	v_fma_f64 v[30:31], v[100:101], s[38:39], v[30:31]
	v_add_f64 v[18:19], v[48:49], v[18:19]
	v_fma_f64 v[40:41], v[98:99], s[20:21], -v[76:77]
	v_add_f64 v[22:23], v[44:45], v[34:35]
	v_mul_f64 v[138:139], v[108:109], s[28:29]
	v_add_f64 v[152:153], v[152:153], v[183:184]
	v_mul_f64 v[199:200], v[124:125], s[38:39]
	v_add_f64 v[203:204], v[211:212], v[205:206]
	v_fma_f64 v[179:180], v[100:101], s[4:5], v[179:180]
	v_fma_f64 v[205:206], v[106:107], s[22:23], v[197:198]
	v_add_f64 v[187:188], v[201:202], v[187:188]
	v_add_f64 v[175:176], v[185:186], v[181:182]
	v_fma_f64 v[185:186], v[98:99], s[12:13], -v[195:196]
	v_add_f64 v[193:194], v[209:210], v[193:194]
	v_fma_f64 v[207:208], v[98:99], s[12:13], v[195:196]
	v_add_f64 v[96:97], v[96:97], v[114:115]
	v_fma_f64 v[32:33], v[98:99], s[20:21], v[76:77]
	v_add_f64 v[16:17], v[36:37], v[16:17]
	v_add_f64 v[10:11], v[14:15], v[10:11]
	v_add_f64 v[14:15], v[20:21], v[8:9]
	v_fma_f64 v[34:35], v[106:107], s[14:15], v[28:29]
	v_add_f64 v[18:19], v[30:31], v[18:19]
	v_fma_f64 v[30:31], v[108:109], s[16:17], -v[46:47]
	v_add_f64 v[20:21], v[40:41], v[22:23]
	v_add_f64 v[12:13], v[152:153], v[24:25]
	v_add_f64 v[24:25], v[138:139], -v[136:137]
	v_fma_f64 v[197:198], v[106:107], s[38:39], v[197:198]
	v_add_f64 v[189:190], v[179:180], v[189:190]
	v_add_f64 v[181:182], v[205:206], v[187:188]
	v_fma_f64 v[187:188], v[108:109], s[20:21], -v[199:200]
	v_add_f64 v[160:161], v[185:186], v[193:194]
	v_fma_f64 v[201:202], v[108:109], s[20:21], v[199:200]
	v_add_f64 v[203:204], v[207:208], v[203:204]
	v_fma_f64 v[22:23], v[106:107], s[30:31], v[28:29]
	;; [unrolled: 2-line block ×3, first 2 shown]
	v_add_f64 v[32:33], v[32:33], v[16:17]
	v_add_f64 v[16:17], v[10:11], v[6:7]
	;; [unrolled: 1-line block ×8, first 2 shown]
	v_mul_u32_u24_e32 v4, 0xd0, v68
	v_add3_u32 v4, 0, v4, v165
	v_add_f64 v[179:180], v[201:202], v[203:204]
	v_add_f64 v[20:21], v[22:23], v[28:29]
	v_add_f64 v[18:19], v[36:37], v[32:33]
	ds_write_b128 v4, v[14:17]
	ds_write_b128 v4, v[6:9] offset:16
	ds_write_b128 v4, v[10:13] offset:32
	;; [unrolled: 1-line block ×12, first 2 shown]
.LBB0_20:
	s_or_b64 exec, exec, s[18:19]
	s_movk_i32 s4, 0x4f
	v_mul_lo_u16_sdwa v4, v68, s4 dst_sel:DWORD dst_unused:UNUSED_PAD src0_sel:BYTE_0 src1_sel:DWORD
	v_lshrrev_b16_e32 v24, 10, v4
	v_mul_lo_u16_e32 v4, 13, v24
	v_sub_u16_e32 v25, v68, v4
	v_mov_b32_e32 v4, 10
	v_mul_u32_u24_sdwa v4, v25, v4 dst_sel:DWORD dst_unused:UNUSED_PAD src0_sel:BYTE_0 src1_sel:DWORD
	v_lshlrev_b32_e32 v46, 4, v4
	s_waitcnt lgkmcnt(0)
	s_barrier
	global_load_dwordx4 v[4:7], v46, s[8:9]
	global_load_dwordx4 v[8:11], v46, s[8:9] offset:16
	global_load_dwordx4 v[12:15], v46, s[8:9] offset:32
	global_load_dwordx4 v[16:19], v46, s[8:9] offset:48
	global_load_dwordx4 v[20:23], v46, s[8:9] offset:64
	global_load_dwordx4 v[26:29], v46, s[8:9] offset:80
	global_load_dwordx4 v[30:33], v46, s[8:9] offset:96
	global_load_dwordx4 v[34:37], v46, s[8:9] offset:112
	global_load_dwordx4 v[38:41], v46, s[8:9] offset:128
	global_load_dwordx4 v[42:45], v46, s[8:9] offset:144
	ds_read_b128 v[46:49], v166
	ds_read_b128 v[50:53], v69 offset:1248
	ds_read_b128 v[54:57], v69 offset:2496
	;; [unrolled: 1-line block ×10, first 2 shown]
	s_mov_b32 s22, 0xf8bb580b
	s_mov_b32 s23, 0xbfe14ced
	;; [unrolled: 1-line block ×26, first 2 shown]
	s_waitcnt vmcnt(0) lgkmcnt(0)
	s_barrier
	v_mul_f64 v[66:67], v[52:53], v[6:7]
	v_mul_f64 v[6:7], v[50:51], v[6:7]
	;; [unrolled: 1-line block ×12, first 2 shown]
	v_fma_f64 v[50:51], v[50:51], v[4:5], -v[66:67]
	v_mul_f64 v[100:101], v[64:65], v[18:19]
	v_mul_f64 v[18:19], v[62:63], v[18:19]
	;; [unrolled: 1-line block ×8, first 2 shown]
	v_fma_f64 v[4:5], v[52:53], v[4:5], v[6:7]
	v_fma_f64 v[6:7], v[54:55], v[8:9], -v[96:97]
	v_fma_f64 v[54:55], v[80:81], v[30:31], -v[106:107]
	v_fma_f64 v[30:31], v[82:83], v[30:31], v[32:33]
	v_fma_f64 v[32:33], v[84:85], v[34:35], -v[108:109]
	v_fma_f64 v[34:35], v[86:87], v[34:35], v[36:37]
	;; [unrolled: 2-line block ×3, first 2 shown]
	v_add_f64 v[40:41], v[46:47], v[50:51]
	v_fma_f64 v[8:9], v[56:57], v[8:9], v[10:11]
	v_fma_f64 v[10:11], v[58:59], v[12:13], -v[98:99]
	v_fma_f64 v[12:13], v[60:61], v[12:13], v[14:15]
	v_fma_f64 v[14:15], v[62:63], v[16:17], -v[100:101]
	;; [unrolled: 2-line block ×5, first 2 shown]
	v_fma_f64 v[28:29], v[94:95], v[42:43], v[44:45]
	v_add_f64 v[42:43], v[48:49], v[4:5]
	v_add_f64 v[58:59], v[6:7], v[36:37]
	v_add_f64 v[62:63], v[6:7], -v[36:37]
	v_add_f64 v[6:7], v[40:41], v[6:7]
	v_add_f64 v[60:61], v[8:9], v[38:39]
	v_add_f64 v[64:65], v[8:9], -v[38:39]
	v_add_f64 v[44:45], v[50:51], v[26:27]
	v_add_f64 v[56:57], v[4:5], v[28:29]
	;; [unrolled: 1-line block ×3, first 2 shown]
	v_add_f64 v[4:5], v[4:5], -v[28:29]
	v_add_f64 v[50:51], v[50:51], -v[26:27]
	v_add_f64 v[6:7], v[6:7], v[10:11]
	v_mul_f64 v[84:85], v[62:63], s[12:13]
	v_mul_f64 v[82:83], v[64:65], s[12:13]
	;; [unrolled: 1-line block ×3, first 2 shown]
	v_add_f64 v[8:9], v[8:9], v[12:13]
	v_mul_f64 v[40:41], v[4:5], s[22:23]
	v_mul_f64 v[42:43], v[50:51], s[22:23]
	v_add_f64 v[6:7], v[6:7], v[14:15]
	v_mul_f64 v[66:67], v[4:5], s[12:13]
	v_mul_f64 v[72:73], v[50:51], s[12:13]
	;; [unrolled: 1-line block ×4, first 2 shown]
	v_add_f64 v[8:9], v[8:9], v[16:17]
	v_mul_f64 v[78:79], v[4:5], s[18:19]
	v_mul_f64 v[80:81], v[50:51], s[18:19]
	v_add_f64 v[6:7], v[6:7], v[18:19]
	v_mul_f64 v[4:5], v[4:5], s[24:25]
	v_mul_f64 v[50:51], v[50:51], s[24:25]
	v_fma_f64 v[88:89], v[44:45], s[14:15], -v[40:41]
	v_fma_f64 v[90:91], v[56:57], s[14:15], v[42:43]
	v_add_f64 v[8:9], v[8:9], v[20:21]
	v_fma_f64 v[40:41], v[44:45], s[14:15], v[40:41]
	v_fma_f64 v[42:43], v[56:57], s[14:15], -v[42:43]
	v_add_f64 v[6:7], v[6:7], v[22:23]
	v_fma_f64 v[92:93], v[44:45], s[4:5], -v[66:67]
	v_fma_f64 v[94:95], v[56:57], s[4:5], v[72:73]
	v_fma_f64 v[66:67], v[44:45], s[4:5], v[66:67]
	v_fma_f64 v[72:73], v[56:57], s[4:5], -v[72:73]
	v_add_f64 v[8:9], v[8:9], v[52:53]
	v_fma_f64 v[96:97], v[44:45], s[6:7], -v[74:75]
	v_fma_f64 v[98:99], v[56:57], s[6:7], v[76:77]
	v_add_f64 v[6:7], v[6:7], v[54:55]
	v_fma_f64 v[74:75], v[44:45], s[6:7], v[74:75]
	v_fma_f64 v[76:77], v[56:57], s[6:7], -v[76:77]
	v_fma_f64 v[100:101], v[44:45], s[16:17], -v[78:79]
	v_fma_f64 v[102:103], v[56:57], s[16:17], v[80:81]
	v_add_f64 v[8:9], v[8:9], v[30:31]
	v_fma_f64 v[78:79], v[44:45], s[16:17], v[78:79]
	v_fma_f64 v[80:81], v[56:57], s[16:17], -v[80:81]
	v_add_f64 v[6:7], v[6:7], v[32:33]
	v_fma_f64 v[104:105], v[44:45], s[20:21], -v[4:5]
	v_fma_f64 v[106:107], v[56:57], s[20:21], v[50:51]
	v_fma_f64 v[4:5], v[44:45], s[20:21], v[4:5]
	v_fma_f64 v[44:45], v[56:57], s[20:21], -v[50:51]
	v_add_f64 v[8:9], v[8:9], v[34:35]
	v_fma_f64 v[50:51], v[58:59], s[4:5], -v[82:83]
	v_fma_f64 v[56:57], v[60:61], s[4:5], v[84:85]
	v_add_f64 v[6:7], v[6:7], v[36:37]
	v_fma_f64 v[82:83], v[58:59], s[4:5], v[82:83]
	v_add_f64 v[88:89], v[46:47], v[88:89]
	v_add_f64 v[90:91], v[48:49], v[90:91]
	;; [unrolled: 1-line block ×7, first 2 shown]
	v_mul_f64 v[6:7], v[62:63], s[18:19]
	v_add_f64 v[66:67], v[46:47], v[66:67]
	v_add_f64 v[96:97], v[46:47], v[96:97]
	;; [unrolled: 1-line block ×12, first 2 shown]
	v_fma_f64 v[50:51], v[60:61], s[16:17], v[6:7]
	v_mul_f64 v[56:57], v[64:65], s[30:31]
	v_mul_f64 v[82:83], v[62:63], s[30:31]
	v_fma_f64 v[84:85], v[60:61], s[4:5], -v[84:85]
	v_add_f64 v[42:43], v[48:49], v[42:43]
	v_add_f64 v[76:77], v[48:49], v[76:77]
	v_fma_f64 v[108:109], v[58:59], s[16:17], -v[86:87]
	v_add_f64 v[38:39], v[48:49], v[102:103]
	v_add_f64 v[50:51], v[50:51], v[94:95]
	v_fma_f64 v[88:89], v[58:59], s[20:21], -v[56:57]
	v_fma_f64 v[90:91], v[60:61], s[20:21], v[82:83]
	v_fma_f64 v[56:57], v[58:59], s[20:21], v[56:57]
	v_fma_f64 v[82:83], v[60:61], s[20:21], -v[82:83]
	v_mul_f64 v[94:95], v[62:63], s[28:29]
	v_add_f64 v[42:43], v[84:85], v[42:43]
	v_mul_f64 v[84:85], v[64:65], s[28:29]
	v_add_f64 v[72:73], v[48:49], v[72:73]
	v_add_f64 v[98:99], v[48:49], v[98:99]
	;; [unrolled: 1-line block ×5, first 2 shown]
	v_fma_f64 v[76:77], v[60:61], s[6:7], v[94:95]
	v_add_f64 v[102:103], v[48:49], v[106:107]
	v_add_f64 v[48:49], v[108:109], v[92:93]
	v_fma_f64 v[86:87], v[58:59], s[16:17], v[86:87]
	v_fma_f64 v[6:7], v[60:61], s[16:17], -v[6:7]
	v_fma_f64 v[92:93], v[58:59], s[6:7], -v[84:85]
	v_fma_f64 v[82:83], v[58:59], s[6:7], v[84:85]
	v_add_f64 v[84:85], v[12:13], -v[34:35]
	v_mul_f64 v[64:65], v[64:65], s[26:27]
	v_mul_f64 v[62:63], v[62:63], s[26:27]
	v_add_f64 v[38:39], v[76:77], v[38:39]
	v_add_f64 v[76:77], v[10:11], -v[32:33]
	v_add_f64 v[66:67], v[86:87], v[66:67]
	v_add_f64 v[6:7], v[6:7], v[72:73]
	;; [unrolled: 1-line block ×4, first 2 shown]
	v_fma_f64 v[88:89], v[60:61], s[6:7], -v[94:95]
	v_add_f64 v[78:79], v[82:83], v[78:79]
	v_add_f64 v[10:11], v[10:11], v[32:33]
	v_mul_f64 v[32:33], v[84:85], s[10:11]
	v_fma_f64 v[82:83], v[58:59], s[14:15], -v[64:65]
	v_fma_f64 v[90:91], v[60:61], s[14:15], v[62:63]
	v_add_f64 v[12:13], v[12:13], v[34:35]
	v_mul_f64 v[34:35], v[76:77], s[10:11]
	v_add_f64 v[36:37], v[92:93], v[36:37]
	v_add_f64 v[80:81], v[88:89], v[80:81]
	v_fma_f64 v[58:59], v[58:59], s[14:15], v[64:65]
	v_fma_f64 v[60:61], v[60:61], s[14:15], -v[62:63]
	v_fma_f64 v[62:63], v[10:11], s[6:7], -v[32:33]
	v_add_f64 v[64:65], v[82:83], v[100:101]
	v_add_f64 v[82:83], v[90:91], v[102:103]
	v_mul_f64 v[88:89], v[84:85], s[30:31]
	v_mul_f64 v[90:91], v[76:77], s[30:31]
	v_fma_f64 v[92:93], v[12:13], s[6:7], v[34:35]
	s_mov_b32 s13, 0x3fed1bb4
	v_add_f64 v[4:5], v[58:59], v[4:5]
	v_add_f64 v[8:9], v[60:61], v[8:9]
	;; [unrolled: 1-line block ×3, first 2 shown]
	v_fma_f64 v[32:33], v[10:11], s[6:7], v[32:33]
	v_fma_f64 v[34:35], v[12:13], s[6:7], -v[34:35]
	v_fma_f64 v[58:59], v[10:11], s[20:21], -v[88:89]
	v_fma_f64 v[60:61], v[12:13], s[20:21], v[90:91]
	v_add_f64 v[46:47], v[92:93], v[46:47]
	v_mul_f64 v[62:63], v[84:85], s[12:13]
	v_mul_f64 v[92:93], v[76:77], s[12:13]
	v_add_f64 v[32:33], v[32:33], v[40:41]
	v_add_f64 v[34:35], v[34:35], v[42:43]
	;; [unrolled: 1-line block ×4, first 2 shown]
	v_fma_f64 v[48:49], v[10:11], s[20:21], v[88:89]
	v_fma_f64 v[50:51], v[12:13], s[20:21], -v[90:91]
	v_fma_f64 v[58:59], v[10:11], s[4:5], -v[62:63]
	v_fma_f64 v[60:61], v[12:13], s[4:5], v[92:93]
	v_mul_f64 v[88:89], v[84:85], s[22:23]
	v_mul_f64 v[90:91], v[76:77], s[22:23]
	v_fma_f64 v[62:63], v[10:11], s[4:5], v[62:63]
	v_fma_f64 v[92:93], v[12:13], s[4:5], -v[92:93]
	v_add_f64 v[48:49], v[48:49], v[66:67]
	v_add_f64 v[6:7], v[50:51], v[6:7]
	;; [unrolled: 1-line block ×4, first 2 shown]
	v_fma_f64 v[60:61], v[10:11], s[14:15], -v[88:89]
	v_fma_f64 v[66:67], v[12:13], s[14:15], v[90:91]
	v_add_f64 v[56:57], v[62:63], v[56:57]
	v_add_f64 v[62:63], v[92:93], v[74:75]
	v_mul_f64 v[74:75], v[76:77], s[18:19]
	v_mul_f64 v[72:73], v[84:85], s[18:19]
	v_fma_f64 v[76:77], v[10:11], s[14:15], v[88:89]
	v_fma_f64 v[84:85], v[12:13], s[14:15], -v[90:91]
	v_add_f64 v[36:37], v[60:61], v[36:37]
	v_add_f64 v[60:61], v[16:17], -v[30:31]
	v_add_f64 v[38:39], v[66:67], v[38:39]
	v_add_f64 v[66:67], v[14:15], -v[54:55]
	v_fma_f64 v[88:89], v[12:13], s[16:17], v[74:75]
	v_add_f64 v[14:15], v[14:15], v[54:55]
	v_add_f64 v[16:17], v[16:17], v[30:31]
	v_fma_f64 v[86:87], v[10:11], s[16:17], -v[72:73]
	v_add_f64 v[76:77], v[76:77], v[78:79]
	v_mul_f64 v[30:31], v[60:61], s[18:19]
	v_add_f64 v[78:79], v[84:85], v[80:81]
	v_mul_f64 v[54:55], v[66:67], s[18:19]
	v_add_f64 v[80:81], v[88:89], v[82:83]
	v_fma_f64 v[10:11], v[10:11], s[16:17], v[72:73]
	v_fma_f64 v[12:13], v[12:13], s[16:17], -v[74:75]
	v_mul_f64 v[72:73], v[60:61], s[28:29]
	v_mul_f64 v[74:75], v[66:67], s[28:29]
	v_fma_f64 v[82:83], v[14:15], s[16:17], -v[30:31]
	v_fma_f64 v[30:31], v[14:15], s[16:17], v[30:31]
	v_fma_f64 v[84:85], v[16:17], s[16:17], v[54:55]
	v_fma_f64 v[54:55], v[16:17], s[16:17], -v[54:55]
	v_add_f64 v[4:5], v[10:11], v[4:5]
	v_add_f64 v[8:9], v[12:13], v[8:9]
	v_fma_f64 v[10:11], v[14:15], s[6:7], -v[72:73]
	v_fma_f64 v[12:13], v[16:17], s[6:7], v[74:75]
	v_add_f64 v[44:45], v[82:83], v[44:45]
	v_add_f64 v[82:83], v[30:31], v[32:33]
	v_mul_f64 v[30:31], v[60:61], s[22:23]
	v_mul_f64 v[32:33], v[66:67], s[22:23]
	v_add_f64 v[34:35], v[54:55], v[34:35]
	v_fma_f64 v[54:55], v[14:15], s[6:7], v[72:73]
	v_add_f64 v[10:11], v[10:11], v[40:41]
	v_add_f64 v[40:41], v[12:13], v[42:43]
	v_mul_f64 v[12:13], v[60:61], s[24:25]
	v_fma_f64 v[72:73], v[16:17], s[6:7], -v[74:75]
	v_fma_f64 v[74:75], v[14:15], s[14:15], -v[30:31]
	v_add_f64 v[46:47], v[84:85], v[46:47]
	v_mul_f64 v[42:43], v[66:67], s[24:25]
	v_fma_f64 v[84:85], v[16:17], s[14:15], v[32:33]
	v_fma_f64 v[30:31], v[14:15], s[14:15], v[30:31]
	v_add_f64 v[64:65], v[86:87], v[64:65]
	v_fma_f64 v[32:33], v[16:17], s[14:15], -v[32:33]
	v_fma_f64 v[86:87], v[14:15], s[20:21], -v[12:13]
	v_add_f64 v[50:51], v[74:75], v[50:51]
	v_add_f64 v[74:75], v[20:21], -v[52:53]
	v_fma_f64 v[88:89], v[16:17], s[20:21], v[42:43]
	v_add_f64 v[48:49], v[54:55], v[48:49]
	v_add_f64 v[54:55], v[84:85], v[58:59]
	;; [unrolled: 1-line block ×3, first 2 shown]
	v_add_f64 v[84:85], v[18:19], -v[22:23]
	v_mul_f64 v[30:31], v[60:61], s[12:13]
	v_add_f64 v[58:59], v[32:33], v[62:63]
	v_add_f64 v[62:63], v[86:87], v[36:37]
	v_mul_f64 v[32:33], v[66:67], s[12:13]
	v_fma_f64 v[12:13], v[14:15], s[20:21], v[12:13]
	v_fma_f64 v[36:37], v[16:17], s[20:21], -v[42:43]
	v_add_f64 v[22:23], v[18:19], v[22:23]
	v_mul_f64 v[18:19], v[74:75], s[24:25]
	v_add_f64 v[6:7], v[72:73], v[6:7]
	v_add_f64 v[72:73], v[88:89], v[38:39]
	;; [unrolled: 1-line block ×3, first 2 shown]
	v_mul_f64 v[38:39], v[84:85], s[24:25]
	v_fma_f64 v[42:43], v[14:15], s[4:5], -v[30:31]
	v_fma_f64 v[52:53], v[16:17], s[4:5], v[32:33]
	v_add_f64 v[60:61], v[12:13], v[76:77]
	v_add_f64 v[66:67], v[36:37], v[78:79]
	v_fma_f64 v[12:13], v[14:15], s[4:5], v[30:31]
	v_fma_f64 v[14:15], v[16:17], s[4:5], -v[32:33]
	v_fma_f64 v[16:17], v[22:23], s[20:21], -v[18:19]
	v_mul_f64 v[36:37], v[74:75], s[26:27]
	v_fma_f64 v[32:33], v[20:21], s[20:21], v[38:39]
	v_add_f64 v[64:65], v[42:43], v[64:65]
	v_mul_f64 v[42:43], v[84:85], s[26:27]
	v_add_f64 v[52:53], v[52:53], v[80:81]
	v_add_f64 v[4:5], v[12:13], v[4:5]
	v_add_f64 v[76:77], v[14:15], v[8:9]
	v_add_f64 v[30:31], v[16:17], v[44:45]
	v_fma_f64 v[14:15], v[20:21], s[20:21], -v[38:39]
	v_fma_f64 v[16:17], v[22:23], s[14:15], -v[36:37]
	v_mul_f64 v[38:39], v[74:75], s[18:19]
	v_add_f64 v[32:33], v[32:33], v[46:47]
	v_fma_f64 v[8:9], v[22:23], s[20:21], v[18:19]
	v_fma_f64 v[18:19], v[20:21], s[14:15], v[42:43]
	v_mul_f64 v[44:45], v[84:85], s[18:19]
	v_fma_f64 v[46:47], v[22:23], s[14:15], v[36:37]
	v_fma_f64 v[42:43], v[20:21], s[14:15], -v[42:43]
	v_add_f64 v[14:15], v[14:15], v[34:35]
	v_add_f64 v[34:35], v[16:17], v[10:11]
	v_fma_f64 v[16:17], v[22:23], s[16:17], -v[38:39]
	v_add_f64 v[12:13], v[8:9], v[82:83]
	v_add_f64 v[36:37], v[18:19], v[40:41]
	v_fma_f64 v[18:19], v[20:21], s[16:17], v[44:45]
	v_add_f64 v[8:9], v[46:47], v[48:49]
	v_add_f64 v[10:11], v[42:43], v[6:7]
	v_fma_f64 v[6:7], v[22:23], s[16:17], v[38:39]
	v_fma_f64 v[42:43], v[20:21], s[16:17], -v[44:45]
	v_mul_f64 v[44:45], v[74:75], s[12:13]
	v_mul_f64 v[46:47], v[84:85], s[12:13]
	v_add_f64 v[38:39], v[16:17], v[50:51]
	v_mul_f64 v[48:49], v[74:75], s[10:11]
	v_mul_f64 v[50:51], v[84:85], s[10:11]
	v_add_f64 v[40:41], v[18:19], v[54:55]
	v_add_f64 v[16:17], v[6:7], v[56:57]
	;; [unrolled: 1-line block ×3, first 2 shown]
	v_fma_f64 v[6:7], v[22:23], s[4:5], -v[44:45]
	v_fma_f64 v[54:55], v[20:21], s[4:5], v[46:47]
	v_fma_f64 v[46:47], v[20:21], s[4:5], -v[46:47]
	v_fma_f64 v[58:59], v[22:23], s[6:7], -v[48:49]
	v_fma_f64 v[74:75], v[20:21], s[6:7], v[50:51]
	v_fma_f64 v[50:51], v[20:21], s[6:7], -v[50:51]
	v_fma_f64 v[78:79], v[22:23], s[6:7], v[48:49]
	v_fma_f64 v[56:57], v[22:23], s[4:5], v[44:45]
	v_add_f64 v[42:43], v[6:7], v[62:63]
	v_add_f64 v[44:45], v[54:55], v[72:73]
	;; [unrolled: 1-line block ×6, first 2 shown]
	s_movk_i32 s4, 0x8f0
	v_mov_b32_e32 v50, 4
	v_add_f64 v[4:5], v[78:79], v[4:5]
	v_mad_u32_u24 v24, v24, s4, 0
	v_lshlrev_b32_sdwa v25, v50, v25 dst_sel:DWORD dst_unused:UNUSED_PAD src0_sel:DWORD src1_sel:BYTE_0
	v_add_f64 v[20:21], v[56:57], v[60:61]
	v_add3_u32 v24, v24, v25, v165
	ds_write_b128 v24, v[26:29]
	ds_write_b128 v24, v[30:33] offset:208
	ds_write_b128 v24, v[34:37] offset:416
	;; [unrolled: 1-line block ×10, first 2 shown]
	s_waitcnt lgkmcnt(0)
	s_barrier
	ds_read_b128 v[24:27], v166
	ds_read_b128 v[28:31], v69 offset:2288
	ds_read_b128 v[32:35], v69 offset:4576
	;; [unrolled: 1-line block ×5, first 2 shown]
	s_movk_i32 s4, 0x41
	v_cmp_gt_u32_e32 vcc, s4, v68
	s_and_saveexec_b64 s[4:5], vcc
	s_cbranch_execz .LBB0_22
; %bb.21:
	ds_read_b128 v[4:7], v69 offset:1248
	ds_read_b128 v[20:23], v69 offset:3536
	;; [unrolled: 1-line block ×6, first 2 shown]
.LBB0_22:
	s_or_b64 exec, exec, s[4:5]
	v_mul_u32_u24_e32 v48, 5, v68
	v_lshlrev_b32_e32 v72, 4, v48
	global_load_dwordx4 v[48:51], v72, s[8:9] offset:2080
	global_load_dwordx4 v[52:55], v72, s[8:9] offset:2096
	;; [unrolled: 1-line block ×5, first 2 shown]
	s_mov_b32 s4, 0xe8584caa
	s_mov_b32 s5, 0x3febb67a
	s_mov_b32 s7, 0xbfebb67a
	s_mov_b32 s6, s4
	s_waitcnt vmcnt(0) lgkmcnt(0)
	s_barrier
	v_mul_f64 v[72:73], v[30:31], v[50:51]
	v_mul_f64 v[50:51], v[28:29], v[50:51]
	;; [unrolled: 1-line block ×10, first 2 shown]
	v_fma_f64 v[40:41], v[40:41], v[56:57], -v[76:77]
	v_fma_f64 v[42:43], v[42:43], v[56:57], v[58:59]
	v_fma_f64 v[46:47], v[46:47], v[60:61], v[78:79]
	v_fma_f64 v[44:45], v[44:45], v[60:61], -v[62:63]
	v_fma_f64 v[28:29], v[28:29], v[48:49], -v[72:73]
	v_fma_f64 v[30:31], v[30:31], v[48:49], v[50:51]
	v_fma_f64 v[32:33], v[32:33], v[52:53], -v[74:75]
	v_fma_f64 v[34:35], v[34:35], v[52:53], v[54:55]
	;; [unrolled: 2-line block ×3, first 2 shown]
	v_add_f64 v[48:49], v[42:43], v[46:47]
	v_add_f64 v[50:51], v[40:41], v[44:45]
	v_add_f64 v[60:61], v[42:43], -v[46:47]
	v_add_f64 v[62:63], v[40:41], -v[44:45]
	v_add_f64 v[52:53], v[24:25], v[32:33]
	v_add_f64 v[58:59], v[26:27], v[34:35]
	;; [unrolled: 1-line block ×3, first 2 shown]
	v_add_f64 v[56:57], v[34:35], -v[38:39]
	v_fma_f64 v[48:49], v[48:49], -0.5, v[30:31]
	v_fma_f64 v[50:51], v[50:51], -0.5, v[28:29]
	v_add_f64 v[34:35], v[34:35], v[38:39]
	v_add_f64 v[28:29], v[28:29], v[40:41]
	;; [unrolled: 1-line block ×3, first 2 shown]
	v_add_f64 v[32:33], v[32:33], -v[36:37]
	v_fma_f64 v[24:25], v[54:55], -0.5, v[24:25]
	v_add_f64 v[36:37], v[52:53], v[36:37]
	v_fma_f64 v[40:41], v[62:63], s[6:7], v[48:49]
	v_fma_f64 v[42:43], v[60:61], s[6:7], v[50:51]
	;; [unrolled: 1-line block ×4, first 2 shown]
	v_fma_f64 v[26:27], v[34:35], -0.5, v[26:27]
	v_add_f64 v[30:31], v[30:31], v[46:47]
	v_add_f64 v[28:29], v[28:29], v[44:45]
	;; [unrolled: 1-line block ×3, first 2 shown]
	v_mul_f64 v[34:35], v[40:41], s[4:5]
	v_mul_f64 v[44:45], v[42:43], -0.5
	v_mul_f64 v[46:47], v[50:51], s[6:7]
	v_mul_f64 v[52:53], v[48:49], -0.5
	v_fma_f64 v[54:55], v[56:57], s[4:5], v[24:25]
	v_fma_f64 v[58:59], v[32:33], s[6:7], v[26:27]
	;; [unrolled: 1-line block ×4, first 2 shown]
	v_fma_f64 v[50:51], v[50:51], 0.5, v[34:35]
	v_fma_f64 v[44:45], v[48:49], s[4:5], v[44:45]
	v_fma_f64 v[46:47], v[40:41], 0.5, v[46:47]
	v_fma_f64 v[48:49], v[42:43], s[6:7], v[52:53]
	v_add_f64 v[24:25], v[36:37], v[28:29]
	v_add_f64 v[26:27], v[38:39], v[30:31]
	v_add_f64 v[28:29], v[36:37], -v[28:29]
	v_add_f64 v[30:31], v[38:39], -v[30:31]
	v_add_f64 v[32:33], v[54:55], v[50:51]
	v_add_f64 v[36:37], v[56:57], v[44:45]
	;; [unrolled: 1-line block ×4, first 2 shown]
	v_add_f64 v[40:41], v[54:55], -v[50:51]
	v_add_f64 v[42:43], v[58:59], -v[46:47]
	;; [unrolled: 1-line block ×4, first 2 shown]
	ds_write_b128 v69, v[24:27]
	ds_write_b128 v69, v[28:31] offset:6864
	ds_write_b128 v69, v[32:35] offset:2288
	;; [unrolled: 1-line block ×5, first 2 shown]
	s_and_saveexec_b64 s[10:11], vcc
	s_cbranch_execz .LBB0_24
; %bb.23:
	v_add_u32_e32 v24, 0x4e, v68
	v_add_u32_e32 v25, 0xffffffbf, v68
	v_cndmask_b32_e32 v24, v25, v24, vcc
	v_mul_i32_i24_e32 v24, 5, v24
	v_mov_b32_e32 v25, 0
	v_lshlrev_b64 v[24:25], 4, v[24:25]
	v_mov_b32_e32 v26, s9
	v_add_co_u32_e32 v44, vcc, s8, v24
	v_addc_co_u32_e32 v45, vcc, v26, v25, vcc
	global_load_dwordx4 v[24:27], v[44:45], off offset:2096
	global_load_dwordx4 v[28:31], v[44:45], off offset:2128
	;; [unrolled: 1-line block ×5, first 2 shown]
	s_waitcnt vmcnt(4)
	v_mul_f64 v[44:45], v[18:19], v[26:27]
	s_waitcnt vmcnt(3)
	v_mul_f64 v[46:47], v[14:15], v[30:31]
	;; [unrolled: 2-line block ×3, first 2 shown]
	v_mul_f64 v[34:35], v[8:9], v[34:35]
	s_waitcnt vmcnt(1)
	v_mul_f64 v[50:51], v[0:1], v[38:39]
	v_mul_f64 v[38:39], v[2:3], v[38:39]
	;; [unrolled: 1-line block ×4, first 2 shown]
	s_waitcnt vmcnt(0)
	v_mul_f64 v[52:53], v[22:23], v[42:43]
	v_mul_f64 v[42:43], v[20:21], v[42:43]
	v_fma_f64 v[8:9], v[8:9], v[32:33], -v[48:49]
	v_fma_f64 v[10:11], v[10:11], v[32:33], v[34:35]
	v_fma_f64 v[2:3], v[2:3], v[36:37], v[50:51]
	v_fma_f64 v[0:1], v[0:1], v[36:37], -v[38:39]
	v_fma_f64 v[16:17], v[16:17], v[24:25], -v[44:45]
	v_fma_f64 v[18:19], v[18:19], v[24:25], v[26:27]
	v_fma_f64 v[14:15], v[14:15], v[28:29], v[30:31]
	v_fma_f64 v[20:21], v[20:21], v[40:41], -v[52:53]
	v_fma_f64 v[22:23], v[22:23], v[40:41], v[42:43]
	v_fma_f64 v[12:13], v[12:13], v[28:29], -v[46:47]
	v_add_f64 v[24:25], v[10:11], v[2:3]
	v_add_f64 v[26:27], v[8:9], v[0:1]
	v_add_f64 v[32:33], v[10:11], -v[2:3]
	v_add_f64 v[34:35], v[8:9], -v[0:1]
	v_add_f64 v[30:31], v[18:19], v[14:15]
	v_add_f64 v[36:37], v[6:7], v[18:19]
	;; [unrolled: 1-line block ×3, first 2 shown]
	v_add_f64 v[28:29], v[16:17], -v[12:13]
	v_fma_f64 v[22:23], v[24:25], -0.5, v[22:23]
	v_fma_f64 v[24:25], v[26:27], -0.5, v[20:21]
	v_add_f64 v[26:27], v[16:17], v[12:13]
	v_add_f64 v[16:17], v[4:5], v[16:17]
	;; [unrolled: 1-line block ×3, first 2 shown]
	v_fma_f64 v[6:7], v[30:31], -0.5, v[6:7]
	v_add_f64 v[18:19], v[18:19], -v[14:15]
	v_add_f64 v[14:15], v[36:37], v[14:15]
	v_fma_f64 v[20:21], v[34:35], s[4:5], v[22:23]
	v_fma_f64 v[30:31], v[32:33], s[4:5], v[24:25]
	;; [unrolled: 1-line block ×4, first 2 shown]
	v_fma_f64 v[4:5], v[26:27], -0.5, v[4:5]
	v_add_f64 v[12:13], v[16:17], v[12:13]
	v_fma_f64 v[26:27], v[28:29], s[4:5], v[6:7]
	v_fma_f64 v[28:29], v[28:29], s[6:7], v[6:7]
	v_add_f64 v[8:9], v[8:9], v[0:1]
	v_mul_f64 v[16:17], v[30:31], s[6:7]
	v_mul_f64 v[6:7], v[22:23], s[4:5]
	v_mul_f64 v[0:1], v[20:21], -0.5
	v_mul_f64 v[32:33], v[24:25], -0.5
	v_add_f64 v[10:11], v[10:11], v[2:3]
	v_fma_f64 v[36:37], v[18:19], s[4:5], v[4:5]
	v_fma_f64 v[34:35], v[18:19], s[6:7], v[4:5]
	v_add_f64 v[4:5], v[12:13], v[8:9]
	v_fma_f64 v[16:17], v[22:23], 0.5, v[16:17]
	v_fma_f64 v[30:31], v[30:31], 0.5, v[6:7]
	v_fma_f64 v[24:25], v[24:25], s[6:7], v[0:1]
	v_fma_f64 v[32:33], v[20:21], s[4:5], v[32:33]
	v_add_f64 v[6:7], v[14:15], v[10:11]
	v_add_f64 v[2:3], v[14:15], -v[10:11]
	v_add_f64 v[0:1], v[12:13], -v[8:9]
	v_add_f64 v[22:23], v[28:29], v[16:17]
	v_add_f64 v[20:21], v[36:37], v[30:31]
	v_add_f64 v[14:15], v[28:29], -v[16:17]
	v_add_f64 v[18:19], v[26:27], v[24:25]
	v_add_f64 v[16:17], v[34:35], v[32:33]
	v_add_f64 v[12:13], v[36:37], -v[30:31]
	v_add_f64 v[10:11], v[26:27], -v[24:25]
	;; [unrolled: 1-line block ×3, first 2 shown]
	ds_write_b128 v69, v[4:7] offset:1248
	ds_write_b128 v69, v[0:3] offset:8112
	;; [unrolled: 1-line block ×6, first 2 shown]
.LBB0_24:
	s_or_b64 exec, exec, s[10:11]
	s_waitcnt lgkmcnt(0)
	s_barrier
	s_and_saveexec_b64 s[4:5], s[0:1]
	s_cbranch_execz .LBB0_26
; %bb.25:
	v_lshl_add_u32 v10, v68, 4, v164
	v_mov_b32_e32 v69, 0
	ds_read_b128 v[0:3], v10
	v_mov_b32_e32 v4, s3
	v_add_co_u32_e32 v11, vcc, s2, v70
	v_addc_co_u32_e32 v12, vcc, v4, v71, vcc
	v_lshlrev_b64 v[4:5], 4, v[68:69]
	v_add_co_u32_e32 v8, vcc, v11, v4
	v_addc_co_u32_e32 v9, vcc, v12, v5, vcc
	ds_read_b128 v[4:7], v10 offset:1248
	s_waitcnt lgkmcnt(1)
	global_store_dwordx4 v[8:9], v[0:3], off
	s_nop 0
	v_add_u32_e32 v0, 0x4e, v68
	v_mov_b32_e32 v1, v69
	v_lshlrev_b64 v[0:1], 4, v[0:1]
	v_add_co_u32_e32 v0, vcc, v11, v0
	v_addc_co_u32_e32 v1, vcc, v12, v1, vcc
	s_waitcnt lgkmcnt(0)
	global_store_dwordx4 v[0:1], v[4:7], off
	ds_read_b128 v[0:3], v10 offset:2496
	v_add_u32_e32 v4, 0x9c, v68
	v_mov_b32_e32 v5, v69
	v_lshlrev_b64 v[4:5], 4, v[4:5]
	v_add_co_u32_e32 v8, vcc, v11, v4
	v_addc_co_u32_e32 v9, vcc, v12, v5, vcc
	ds_read_b128 v[4:7], v10 offset:3744
	s_waitcnt lgkmcnt(1)
	global_store_dwordx4 v[8:9], v[0:3], off
	s_nop 0
	v_add_u32_e32 v0, 0xea, v68
	v_mov_b32_e32 v1, v69
	v_lshlrev_b64 v[0:1], 4, v[0:1]
	v_add_co_u32_e32 v0, vcc, v11, v0
	v_addc_co_u32_e32 v1, vcc, v12, v1, vcc
	s_waitcnt lgkmcnt(0)
	global_store_dwordx4 v[0:1], v[4:7], off
	ds_read_b128 v[0:3], v10 offset:4992
	v_add_u32_e32 v4, 0x138, v68
	v_mov_b32_e32 v5, v69
	;; [unrolled: 17-line block ×4, first 2 shown]
	v_lshlrev_b64 v[4:5], 4, v[4:5]
	v_add_co_u32_e32 v8, vcc, v11, v4
	v_addc_co_u32_e32 v9, vcc, v12, v5, vcc
	ds_read_b128 v[4:7], v10 offset:11232
	s_waitcnt lgkmcnt(1)
	global_store_dwordx4 v[8:9], v[0:3], off
	s_nop 0
	v_add_u32_e32 v0, 0x2be, v68
	v_mov_b32_e32 v1, v69
	v_lshlrev_b64 v[0:1], 4, v[0:1]
	v_add_u32_e32 v68, 0x30c, v68
	v_add_co_u32_e32 v0, vcc, v11, v0
	v_addc_co_u32_e32 v1, vcc, v12, v1, vcc
	s_waitcnt lgkmcnt(0)
	global_store_dwordx4 v[0:1], v[4:7], off
	ds_read_b128 v[0:3], v10 offset:12480
	v_lshlrev_b64 v[4:5], 4, v[68:69]
	v_add_co_u32_e32 v4, vcc, v11, v4
	v_addc_co_u32_e32 v5, vcc, v12, v5, vcc
	s_waitcnt lgkmcnt(0)
	global_store_dwordx4 v[4:5], v[0:3], off
.LBB0_26:
	s_endpgm
	.section	.rodata,"a",@progbits
	.p2align	6, 0x0
	.amdhsa_kernel fft_rtc_fwd_len858_factors_13_11_6_wgs_234_tpt_78_halfLds_dp_ip_CI_unitstride_sbrr_C2R_dirReg
		.amdhsa_group_segment_fixed_size 0
		.amdhsa_private_segment_fixed_size 0
		.amdhsa_kernarg_size 88
		.amdhsa_user_sgpr_count 6
		.amdhsa_user_sgpr_private_segment_buffer 1
		.amdhsa_user_sgpr_dispatch_ptr 0
		.amdhsa_user_sgpr_queue_ptr 0
		.amdhsa_user_sgpr_kernarg_segment_ptr 1
		.amdhsa_user_sgpr_dispatch_id 0
		.amdhsa_user_sgpr_flat_scratch_init 0
		.amdhsa_user_sgpr_private_segment_size 0
		.amdhsa_uses_dynamic_stack 0
		.amdhsa_system_sgpr_private_segment_wavefront_offset 0
		.amdhsa_system_sgpr_workgroup_id_x 1
		.amdhsa_system_sgpr_workgroup_id_y 0
		.amdhsa_system_sgpr_workgroup_id_z 0
		.amdhsa_system_sgpr_workgroup_info 0
		.amdhsa_system_vgpr_workitem_id 0
		.amdhsa_next_free_vgpr 221
		.amdhsa_next_free_sgpr 46
		.amdhsa_reserve_vcc 1
		.amdhsa_reserve_flat_scratch 0
		.amdhsa_float_round_mode_32 0
		.amdhsa_float_round_mode_16_64 0
		.amdhsa_float_denorm_mode_32 3
		.amdhsa_float_denorm_mode_16_64 3
		.amdhsa_dx10_clamp 1
		.amdhsa_ieee_mode 1
		.amdhsa_fp16_overflow 0
		.amdhsa_exception_fp_ieee_invalid_op 0
		.amdhsa_exception_fp_denorm_src 0
		.amdhsa_exception_fp_ieee_div_zero 0
		.amdhsa_exception_fp_ieee_overflow 0
		.amdhsa_exception_fp_ieee_underflow 0
		.amdhsa_exception_fp_ieee_inexact 0
		.amdhsa_exception_int_div_zero 0
	.end_amdhsa_kernel
	.text
.Lfunc_end0:
	.size	fft_rtc_fwd_len858_factors_13_11_6_wgs_234_tpt_78_halfLds_dp_ip_CI_unitstride_sbrr_C2R_dirReg, .Lfunc_end0-fft_rtc_fwd_len858_factors_13_11_6_wgs_234_tpt_78_halfLds_dp_ip_CI_unitstride_sbrr_C2R_dirReg
                                        ; -- End function
	.section	.AMDGPU.csdata,"",@progbits
; Kernel info:
; codeLenInByte = 11836
; NumSgprs: 50
; NumVgprs: 221
; ScratchSize: 0
; MemoryBound: 0
; FloatMode: 240
; IeeeMode: 1
; LDSByteSize: 0 bytes/workgroup (compile time only)
; SGPRBlocks: 6
; VGPRBlocks: 55
; NumSGPRsForWavesPerEU: 50
; NumVGPRsForWavesPerEU: 221
; Occupancy: 1
; WaveLimiterHint : 1
; COMPUTE_PGM_RSRC2:SCRATCH_EN: 0
; COMPUTE_PGM_RSRC2:USER_SGPR: 6
; COMPUTE_PGM_RSRC2:TRAP_HANDLER: 0
; COMPUTE_PGM_RSRC2:TGID_X_EN: 1
; COMPUTE_PGM_RSRC2:TGID_Y_EN: 0
; COMPUTE_PGM_RSRC2:TGID_Z_EN: 0
; COMPUTE_PGM_RSRC2:TIDIG_COMP_CNT: 0
	.type	__hip_cuid_a9b71ce4de69bf43,@object ; @__hip_cuid_a9b71ce4de69bf43
	.section	.bss,"aw",@nobits
	.globl	__hip_cuid_a9b71ce4de69bf43
__hip_cuid_a9b71ce4de69bf43:
	.byte	0                               ; 0x0
	.size	__hip_cuid_a9b71ce4de69bf43, 1

	.ident	"AMD clang version 19.0.0git (https://github.com/RadeonOpenCompute/llvm-project roc-6.4.0 25133 c7fe45cf4b819c5991fe208aaa96edf142730f1d)"
	.section	".note.GNU-stack","",@progbits
	.addrsig
	.addrsig_sym __hip_cuid_a9b71ce4de69bf43
	.amdgpu_metadata
---
amdhsa.kernels:
  - .args:
      - .actual_access:  read_only
        .address_space:  global
        .offset:         0
        .size:           8
        .value_kind:     global_buffer
      - .offset:         8
        .size:           8
        .value_kind:     by_value
      - .actual_access:  read_only
        .address_space:  global
        .offset:         16
        .size:           8
        .value_kind:     global_buffer
      - .actual_access:  read_only
        .address_space:  global
        .offset:         24
        .size:           8
        .value_kind:     global_buffer
      - .offset:         32
        .size:           8
        .value_kind:     by_value
      - .actual_access:  read_only
        .address_space:  global
        .offset:         40
        .size:           8
        .value_kind:     global_buffer
      - .actual_access:  read_only
        .address_space:  global
        .offset:         48
        .size:           8
        .value_kind:     global_buffer
      - .offset:         56
        .size:           4
        .value_kind:     by_value
      - .actual_access:  read_only
        .address_space:  global
        .offset:         64
        .size:           8
        .value_kind:     global_buffer
      - .actual_access:  read_only
        .address_space:  global
        .offset:         72
        .size:           8
        .value_kind:     global_buffer
      - .address_space:  global
        .offset:         80
        .size:           8
        .value_kind:     global_buffer
    .group_segment_fixed_size: 0
    .kernarg_segment_align: 8
    .kernarg_segment_size: 88
    .language:       OpenCL C
    .language_version:
      - 2
      - 0
    .max_flat_workgroup_size: 234
    .name:           fft_rtc_fwd_len858_factors_13_11_6_wgs_234_tpt_78_halfLds_dp_ip_CI_unitstride_sbrr_C2R_dirReg
    .private_segment_fixed_size: 0
    .sgpr_count:     50
    .sgpr_spill_count: 0
    .symbol:         fft_rtc_fwd_len858_factors_13_11_6_wgs_234_tpt_78_halfLds_dp_ip_CI_unitstride_sbrr_C2R_dirReg.kd
    .uniform_work_group_size: 1
    .uses_dynamic_stack: false
    .vgpr_count:     221
    .vgpr_spill_count: 0
    .wavefront_size: 64
amdhsa.target:   amdgcn-amd-amdhsa--gfx906
amdhsa.version:
  - 1
  - 2
...

	.end_amdgpu_metadata
